;; amdgpu-corpus repo=ROCm/rocFFT kind=compiled arch=gfx1030 opt=O3
	.text
	.amdgcn_target "amdgcn-amd-amdhsa--gfx1030"
	.amdhsa_code_object_version 6
	.protected	bluestein_single_back_len1350_dim1_sp_op_CI_CI ; -- Begin function bluestein_single_back_len1350_dim1_sp_op_CI_CI
	.globl	bluestein_single_back_len1350_dim1_sp_op_CI_CI
	.p2align	8
	.type	bluestein_single_back_len1350_dim1_sp_op_CI_CI,@function
bluestein_single_back_len1350_dim1_sp_op_CI_CI: ; @bluestein_single_back_len1350_dim1_sp_op_CI_CI
; %bb.0:
	s_load_dwordx4 s[16:19], s[4:5], 0x28
	v_mul_u32_u24_e32 v1, 0x1e6, v0
	v_mov_b32_e32 v81, 0
	s_mov_b32 s0, exec_lo
	v_lshrrev_b32_e32 v1, 16, v1
	v_add_nc_u32_e32 v80, s6, v1
	s_waitcnt lgkmcnt(0)
	v_cmpx_gt_u64_e64 s[16:17], v[80:81]
	s_cbranch_execz .LBB0_26
; %bb.1:
	s_clause 0x1
	s_load_dwordx4 s[0:3], s[4:5], 0x18
	s_load_dwordx4 s[12:15], s[4:5], 0x0
	v_mul_lo_u16 v1, 0x87, v1
	v_mov_b32_e32 v54, 3
	s_load_dwordx2 s[4:5], s[4:5], 0x38
	v_sub_nc_u16 v16, v0, v1
	v_and_b32_e32 v113, 0xffff, v16
	v_lshlrev_b32_e32 v114, 3, v113
	s_waitcnt lgkmcnt(0)
	s_load_dwordx4 s[8:11], s[0:1], 0x0
	s_clause 0x1
	global_load_dwordx2 v[81:82], v114, s[12:13]
	global_load_dwordx2 v[93:94], v114, s[12:13] offset:1080
	v_add_co_u32 v12, s0, s12, v114
	v_add_co_ci_u32_e64 v13, null, s13, 0, s0
	v_add_nc_u32_e32 v33, 0x2000, v114
	v_add_nc_u32_e32 v28, 0x1800, v114
	s_waitcnt lgkmcnt(0)
	v_mad_u64_u32 v[0:1], null, s10, v80, 0
	v_mad_u64_u32 v[2:3], null, s8, v113, 0
	s_mul_i32 s0, s9, 0x870
	s_mul_hi_u32 s1, s8, 0x870
	s_mul_i32 s6, s8, 0x870
	s_add_i32 s1, s1, s0
	s_mul_i32 s0, s9, 0xffffe278
	v_mad_u64_u32 v[4:5], null, s11, v80, v[1:2]
	s_sub_i32 s0, s0, s8
	v_mad_u64_u32 v[5:6], null, s9, v113, v[3:4]
	v_mov_b32_e32 v1, v4
	v_add_co_u32 v6, vcc_lo, 0x800, v12
	v_add_co_ci_u32_e32 v7, vcc_lo, 0, v13, vcc_lo
	v_lshlrev_b64 v[0:1], 3, v[0:1]
	v_mov_b32_e32 v3, v5
	v_add_co_u32 v4, vcc_lo, 0x1000, v12
	v_add_co_ci_u32_e32 v5, vcc_lo, 0, v13, vcc_lo
	v_lshlrev_b64 v[2:3], 3, v[2:3]
	v_add_co_u32 v0, vcc_lo, s18, v0
	v_add_co_ci_u32_e32 v1, vcc_lo, s19, v1, vcc_lo
	global_load_dwordx2 v[85:86], v[4:5], off offset:224
	v_add_co_u32 v0, vcc_lo, v0, v2
	v_add_co_ci_u32_e32 v1, vcc_lo, v1, v3, vcc_lo
	v_add_co_u32 v2, vcc_lo, v0, s6
	v_add_co_ci_u32_e32 v3, vcc_lo, s1, v1, vcc_lo
	;; [unrolled: 2-line block ×6, first 2 shown]
	global_load_dwordx2 v[0:1], v[0:1], off
	global_load_dwordx2 v[89:90], v[8:9], off offset:336
	global_load_dwordx2 v[2:3], v[2:3], off
	global_load_dwordx2 v[99:100], v[6:7], off offset:112
	v_add_co_u32 v17, vcc_lo, v14, s6
	v_add_co_ci_u32_e32 v18, vcc_lo, s1, v15, vcc_lo
	global_load_dwordx2 v[10:11], v[10:11], off
	s_clause 0x2
	global_load_dwordx2 v[97:98], v[12:13], off offset:448
	global_load_dwordx2 v[95:96], v[6:7], off offset:1192
	;; [unrolled: 1-line block ×3, first 2 shown]
	s_clause 0x1
	global_load_dwordx2 v[4:5], v[14:15], off
	global_load_dwordx2 v[6:7], v[17:18], off
	v_mad_u64_u32 v[19:20], null, 0xffffe278, s8, v[17:18]
	v_add_nc_u32_e32 v20, s0, v20
	v_add_co_u32 v14, vcc_lo, v19, s6
	v_add_co_u32 v125, s0, 0x87, v113
	v_add_co_ci_u32_e32 v15, vcc_lo, s1, v20, vcc_lo
	v_add_co_u32 v17, vcc_lo, v14, s6
	global_load_dwordx2 v[19:20], v[19:20], off
	v_add_co_ci_u32_e32 v18, vcc_lo, s1, v15, vcc_lo
	v_add_co_u32 v21, vcc_lo, v17, s6
	global_load_dwordx2 v[14:15], v[14:15], off
	v_add_co_ci_u32_e32 v22, vcc_lo, s1, v18, vcc_lo
	global_load_dwordx2 v[23:24], v[17:18], off
	v_add_co_u32 v17, vcc_lo, v21, s6
	v_add_co_ci_u32_e32 v18, vcc_lo, s1, v22, vcc_lo
	global_load_dwordx2 v[87:88], v[8:9], off offset:1416
	global_load_dwordx2 v[8:9], v[21:22], off
	global_load_dwordx2 v[91:92], v[12:13], off offset:1528
	global_load_dwordx2 v[12:13], v[17:18], off
	s_load_dwordx4 s[8:11], s[2:3], 0x0
	v_and_b32_e32 v17, 0xff, v16
	v_add_nc_u32_e32 v18, 0x800, v114
	v_add_co_ci_u32_e64 v70, null, 0, 0, s0
	v_cmp_gt_u16_e32 vcc_lo, 45, v16
	v_mul_lo_u16 v17, 0xcd, v17
	v_lshrrev_b16 v32, 10, v17
	v_add_nc_u32_e32 v17, 0x1000, v114
	v_mul_lo_u16 v27, v32, 5
	s_waitcnt vmcnt(16)
	v_mul_f32_e32 v21, v1, v82
	v_mul_f32_e32 v22, v0, v82
	s_waitcnt vmcnt(13)
	v_mul_f32_e32 v25, v3, v100
	v_mul_f32_e32 v26, v2, v100
	v_fmac_f32_e32 v21, v0, v81
	s_waitcnt vmcnt(12)
	v_mul_f32_e32 v0, v11, v86
	v_fma_f32 v22, v1, v81, -v22
	v_mul_f32_e32 v1, v10, v86
	v_fmac_f32_e32 v25, v2, v99
	v_fma_f32 v26, v3, v99, -v26
	s_waitcnt vmcnt(8)
	v_mul_f32_e32 v2, v5, v90
	v_mul_f32_e32 v3, v4, v90
	v_fmac_f32_e32 v0, v10, v85
	s_waitcnt vmcnt(7)
	v_mul_f32_e32 v10, v7, v98
	v_mul_f32_e32 v29, v6, v98
	v_fma_f32 v1, v11, v85, -v1
	v_fmac_f32_e32 v2, v4, v89
	v_fma_f32 v3, v5, v89, -v3
	v_fmac_f32_e32 v10, v6, v97
	v_fma_f32 v11, v7, v97, -v29
	ds_write_b64 v114, v[25:26] offset:2160
	ds_write_b64 v114, v[0:1] offset:4320
	;; [unrolled: 1-line block ×4, first 2 shown]
	s_waitcnt vmcnt(6)
	v_mul_f32_e32 v0, v20, v94
	v_mul_f32_e32 v1, v19, v94
	s_waitcnt vmcnt(5)
	v_mul_f32_e32 v2, v15, v96
	v_mul_f32_e32 v3, v14, v96
	v_fmac_f32_e32 v0, v19, v93
	s_waitcnt vmcnt(4)
	v_mul_f32_e32 v4, v24, v84
	v_mul_f32_e32 v5, v23, v84
	v_fma_f32 v1, v20, v93, -v1
	s_waitcnt vmcnt(2)
	v_mul_f32_e32 v6, v9, v88
	v_mul_f32_e32 v7, v8, v88
	s_waitcnt vmcnt(0)
	v_mul_f32_e32 v10, v13, v92
	v_mul_f32_e32 v11, v12, v92
	v_fmac_f32_e32 v2, v14, v95
	v_fma_f32 v3, v15, v95, -v3
	v_fmac_f32_e32 v4, v23, v83
	v_fma_f32 v5, v24, v83, -v5
	v_fmac_f32_e32 v6, v8, v87
	v_fma_f32 v7, v9, v87, -v7
	v_fmac_f32_e32 v10, v12, v91
	v_fma_f32 v11, v13, v91, -v11
	ds_write2_b64 v114, v[21:22], v[0:1] offset1:135
	ds_write_b64 v114, v[2:3] offset:3240
	ds_write_b64 v114, v[4:5] offset:5400
	;; [unrolled: 1-line block ×4, first 2 shown]
	v_mul_lo_u16 v20, v16, 5
	v_mul_u32_u24_e32 v21, 5, v125
	s_waitcnt lgkmcnt(0)
	s_barrier
	buffer_gl0_inv
	ds_read2_b64 v[0:3], v114 offset1:135
	ds_read2_b64 v[4:7], v18 offset0:14 offset1:149
	ds_read2_b64 v[8:11], v17 offset0:28 offset1:163
	;; [unrolled: 1-line block ×3, first 2 shown]
	v_lshlrev_b32_sdwa v116, v54, v20 dst_sel:DWORD dst_unused:UNUSED_PAD src0_sel:DWORD src1_sel:WORD_0
	v_lshlrev_b32_e32 v115, 3, v21
	ds_read2_b64 v[20:23], v33 offset0:56 offset1:191
	v_sub_nc_u16 v19, v16, v27
	s_waitcnt lgkmcnt(0)
	s_barrier
	buffer_gl0_inv
	v_and_b32_e32 v19, 0xff, v19
	v_mad_u64_u32 v[24:25], null, 0x48, v19, s[14:15]
	v_add_f32_e32 v26, v0, v4
	v_sub_f32_e32 v30, v4, v8
	v_add_f32_e32 v27, v8, v12
	v_sub_f32_e32 v31, v8, v4
	v_add_f32_e32 v34, v1, v5
	v_add_f32_e32 v35, v9, v13
	v_sub_f32_e32 v37, v5, v9
	v_sub_f32_e32 v38, v9, v5
	;; [unrolled: 1-line block ×3, first 2 shown]
	v_add_f32_e32 v50, v4, v20
	v_sub_f32_e32 v51, v4, v20
	v_add_f32_e32 v52, v5, v21
	v_sub_f32_e32 v4, v20, v12
	v_sub_f32_e32 v5, v12, v20
	v_add_f32_e32 v39, v2, v6
	v_add_f32_e32 v43, v3, v7
	;; [unrolled: 1-line block ×3, first 2 shown]
	v_sub_f32_e32 v42, v6, v10
	v_sub_f32_e32 v44, v10, v6
	v_add_f32_e32 v45, v11, v15
	v_sub_f32_e32 v47, v7, v11
	v_sub_f32_e32 v48, v11, v7
	;; [unrolled: 1-line block ×3, first 2 shown]
	v_add_f32_e32 v55, v6, v22
	v_sub_f32_e32 v56, v6, v22
	v_add_f32_e32 v57, v7, v23
	v_sub_f32_e32 v6, v21, v13
	v_sub_f32_e32 v7, v13, v21
	;; [unrolled: 1-line block ×4, first 2 shown]
	v_add_f32_e32 v8, v26, v8
	v_add_f32_e32 v9, v34, v9
	;; [unrolled: 1-line block ×4, first 2 shown]
	v_fma_f32 v4, -0.5, v27, v0
	v_fma_f32 v5, -0.5, v35, v1
	v_sub_f32_e32 v41, v11, v15
	v_sub_f32_e32 v46, v10, v14
	;; [unrolled: 1-line block ×3, first 2 shown]
	v_add_f32_e32 v10, v39, v10
	v_add_f32_e32 v11, v43, v11
	v_fma_f32 v0, -0.5, v50, v0
	v_fma_f32 v1, -0.5, v52, v1
	v_add_f32_e32 v27, v37, v6
	v_add_f32_e32 v31, v38, v7
	v_fma_f32 v6, -0.5, v40, v2
	v_fma_f32 v7, -0.5, v45, v3
	;; [unrolled: 1-line block ×3, first 2 shown]
	v_fmac_f32_e32 v3, -0.5, v57
	v_add_f32_e32 v39, v8, v12
	v_add_f32_e32 v40, v9, v13
	v_fmamk_f32 v8, v49, 0x3f737871, v4
	v_fmamk_f32 v9, v51, 0xbf737871, v5
	v_add_f32_e32 v34, v42, v58
	v_add_f32_e32 v42, v10, v14
	;; [unrolled: 1-line block ×3, first 2 shown]
	v_fmamk_f32 v10, v29, 0xbf737871, v0
	v_fmac_f32_e32 v0, 0x3f737871, v29
	v_fmamk_f32 v11, v36, 0x3f737871, v1
	v_fmac_f32_e32 v1, 0xbf737871, v36
	v_fmac_f32_e32 v4, 0xbf737871, v49
	;; [unrolled: 1-line block ×3, first 2 shown]
	v_sub_f32_e32 v60, v23, v15
	v_fmamk_f32 v12, v53, 0x3f737871, v6
	v_fmamk_f32 v13, v56, 0xbf737871, v7
	v_sub_f32_e32 v59, v14, v22
	v_sub_f32_e32 v61, v15, v23
	v_fmac_f32_e32 v6, 0xbf737871, v53
	v_fmamk_f32 v14, v41, 0xbf737871, v2
	v_fmac_f32_e32 v2, 0x3f737871, v41
	v_fmac_f32_e32 v7, 0x3f737871, v56
	v_fmamk_f32 v15, v46, 0x3f737871, v3
	v_fmac_f32_e32 v3, 0xbf737871, v46
	v_fmac_f32_e32 v8, 0x3f167918, v29
	;; [unrolled: 1-line block ×9, first 2 shown]
	v_add_f32_e32 v37, v47, v60
	v_fmac_f32_e32 v12, 0x3f167918, v41
	v_fmac_f32_e32 v13, 0xbf167918, v46
	v_add_f32_e32 v35, v44, v59
	v_add_f32_e32 v38, v48, v61
	v_fmac_f32_e32 v6, 0xbf167918, v41
	v_fmac_f32_e32 v14, 0x3f167918, v53
	v_fmac_f32_e32 v2, 0xbf167918, v53
	v_fmac_f32_e32 v7, 0x3f167918, v46
	v_fmac_f32_e32 v15, 0xbf167918, v56
	v_fmac_f32_e32 v3, 0x3f167918, v56
	v_add_f32_e32 v20, v39, v20
	v_add_f32_e32 v21, v40, v21
	v_fmac_f32_e32 v8, 0x3e9e377a, v26
	v_fmac_f32_e32 v9, 0x3e9e377a, v27
	v_fmac_f32_e32 v10, 0x3e9e377a, v30
	v_fmac_f32_e32 v0, 0x3e9e377a, v30
	v_fmac_f32_e32 v11, 0x3e9e377a, v31
	v_fmac_f32_e32 v1, 0x3e9e377a, v31
	v_fmac_f32_e32 v4, 0x3e9e377a, v26
	v_fmac_f32_e32 v5, 0x3e9e377a, v27
	v_add_f32_e32 v22, v42, v22
	v_add_f32_e32 v23, v43, v23
	v_fmac_f32_e32 v12, 0x3e9e377a, v34
	v_fmac_f32_e32 v13, 0x3e9e377a, v37
	;; [unrolled: 1-line block ×8, first 2 shown]
	ds_write2_b64 v116, v[20:21], v[8:9] offset1:1
	ds_write2_b64 v116, v[10:11], v[0:1] offset0:2 offset1:3
	ds_write_b64 v116, v[4:5] offset:32
	ds_write2_b64 v115, v[22:23], v[12:13] offset1:1
	ds_write2_b64 v115, v[14:15], v[2:3] offset0:2 offset1:3
	ds_write_b64 v115, v[6:7] offset:32
	s_waitcnt lgkmcnt(0)
	s_barrier
	buffer_gl0_inv
	s_clause 0x4
	global_load_dwordx4 v[8:11], v[24:25], off
	global_load_dwordx4 v[4:7], v[24:25], off offset:16
	global_load_dwordx4 v[0:3], v[24:25], off offset:32
	;; [unrolled: 1-line block ×3, first 2 shown]
	global_load_dwordx2 v[101:102], v[24:25], off offset:64
	v_mov_b32_e32 v34, 50
	ds_read2_b64 v[20:23], v18 offset0:14 offset1:149
	ds_read2_b64 v[24:27], v17 offset0:28 offset1:163
	;; [unrolled: 1-line block ×3, first 2 shown]
	v_add_nc_u32_e32 v40, 0x1c00, v114
	v_mul_u32_u24_sdwa v36, v32, v34 dst_sel:DWORD dst_unused:UNUSED_PAD src0_sel:WORD_0 src1_sel:DWORD
	ds_read2_b64 v[32:35], v33 offset0:56 offset1:191
	v_add_lshl_u32 v117, v36, v19, 3
	ds_read2_b64 v[36:39], v114 offset1:135
	s_waitcnt vmcnt(0) lgkmcnt(0)
	s_barrier
	buffer_gl0_inv
	v_mul_f32_e32 v19, v21, v11
	v_mul_f32_e32 v41, v20, v11
	;; [unrolled: 1-line block ×17, first 2 shown]
	v_fma_f32 v19, v20, v10, -v19
	v_fmac_f32_e32 v41, v21, v10
	v_fma_f32 v20, v22, v4, -v42
	v_fmac_f32_e32 v43, v23, v4
	;; [unrolled: 2-line block ×4, first 2 shown]
	v_fma_f32 v23, v28, v2, -v48
	v_fma_f32 v24, v30, v12, -v50
	v_fmac_f32_e32 v51, v31, v12
	v_fma_f32 v25, v32, v14, -v52
	v_mul_f32_e32 v53, v32, v15
	v_fma_f32 v26, v34, v101, -v55
	v_fmac_f32_e32 v56, v35, v101
	v_fma_f32 v27, v38, v8, -v57
	v_fmac_f32_e32 v58, v39, v8
	v_fmac_f32_e32 v49, v29, v2
	v_add_f32_e32 v28, v21, v23
	v_sub_f32_e32 v34, v19, v21
	v_sub_f32_e32 v35, v25, v23
	v_add_f32_e32 v50, v22, v24
	v_add_f32_e32 v52, v47, v51
	v_fmac_f32_e32 v53, v33, v14
	v_add_f32_e32 v32, v36, v19
	v_sub_f32_e32 v42, v20, v22
	v_sub_f32_e32 v46, v43, v47
	;; [unrolled: 1-line block ×4, first 2 shown]
	v_add_f32_e32 v61, v27, v20
	v_add_f32_e32 v62, v58, v43
	v_sub_f32_e32 v69, v22, v20
	v_add_f32_e32 v20, v20, v26
	v_sub_f32_e32 v72, v47, v43
	v_add_f32_e32 v43, v43, v56
	v_add_f32_e32 v29, v19, v25
	;; [unrolled: 1-line block ×3, first 2 shown]
	v_sub_f32_e32 v44, v26, v24
	v_fma_f32 v74, -0.5, v28, v36
	v_add_f32_e32 v28, v34, v35
	v_fma_f32 v34, -0.5, v50, v27
	v_fma_f32 v35, -0.5, v52, v58
	v_add_f32_e32 v31, v41, v53
	v_sub_f32_e32 v38, v41, v45
	v_sub_f32_e32 v39, v53, v49
	;; [unrolled: 1-line block ×8, first 2 shown]
	v_add_f32_e32 v21, v32, v21
	v_add_f32_e32 v22, v61, v22
	v_fmac_f32_e32 v27, -0.5, v20
	v_fmac_f32_e32 v58, -0.5, v43
	v_add_f32_e32 v33, v37, v41
	v_sub_f32_e32 v48, v56, v51
	v_sub_f32_e32 v64, v45, v49
	v_fma_f32 v36, -0.5, v29, v36
	v_fma_f32 v75, -0.5, v30, v37
	v_add_f32_e32 v30, v42, v44
	v_fmamk_f32 v43, v55, 0xbf737871, v35
	v_fmamk_f32 v44, v59, 0x3f737871, v34
	v_sub_f32_e32 v63, v41, v53
	v_sub_f32_e32 v41, v45, v41
	;; [unrolled: 1-line block ×5, first 2 shown]
	v_fma_f32 v37, -0.5, v31, v37
	v_add_f32_e32 v29, v38, v39
	v_add_f32_e32 v38, v19, v67
	;; [unrolled: 1-line block ×4, first 2 shown]
	v_fmamk_f32 v23, v60, 0xbf737871, v27
	v_fmac_f32_e32 v27, 0x3f737871, v60
	v_fmamk_f32 v24, v57, 0x3f737871, v58
	v_fmac_f32_e32 v58, 0xbf737871, v57
	v_add_f32_e32 v32, v33, v45
	v_add_f32_e32 v33, v62, v47
	v_fmac_f32_e32 v34, 0xbf737871, v59
	v_fmac_f32_e32 v35, 0x3f737871, v55
	v_add_f32_e32 v31, v46, v48
	v_fmamk_f32 v45, v64, 0xbf737871, v36
	v_fmac_f32_e32 v36, 0x3f737871, v64
	v_fmac_f32_e32 v43, 0xbf167918, v57
	;; [unrolled: 1-line block ×3, first 2 shown]
	v_add_f32_e32 v39, v41, v68
	v_add_f32_e32 v41, v69, v71
	;; [unrolled: 1-line block ×3, first 2 shown]
	v_fmamk_f32 v46, v66, 0x3f737871, v37
	v_fmac_f32_e32 v37, 0xbf737871, v66
	v_fmac_f32_e32 v23, 0x3f167918, v59
	;; [unrolled: 1-line block ×5, first 2 shown]
	v_add_f32_e32 v20, v32, v49
	v_add_f32_e32 v22, v33, v51
	v_fmamk_f32 v32, v63, 0x3f737871, v74
	v_fmamk_f32 v33, v65, 0xbf737871, v75
	v_fmac_f32_e32 v74, 0xbf737871, v63
	v_fmac_f32_e32 v75, 0x3f737871, v65
	;; [unrolled: 1-line block ×8, first 2 shown]
	v_add_f32_e32 v25, v19, v25
	v_add_f32_e32 v21, v21, v26
	v_fmac_f32_e32 v46, 0xbf167918, v65
	v_fmac_f32_e32 v37, 0x3f167918, v65
	;; [unrolled: 1-line block ×14, first 2 shown]
	v_mul_f32_e32 v31, 0x3f167918, v43
	v_mul_f32_e32 v38, 0xbf167918, v44
	v_add_f32_e32 v19, v25, v21
	v_fmac_f32_e32 v46, 0x3e9e377a, v39
	v_fmac_f32_e32 v37, 0x3e9e377a, v39
	v_sub_f32_e32 v21, v25, v21
	v_mul_f32_e32 v39, 0x3f737871, v24
	v_mul_f32_e32 v41, 0xbf737871, v23
	v_mul_f32_e32 v25, 0x3e9e377a, v27
	v_mul_f32_e32 v26, 0x3e9e377a, v58
	v_add_f32_e32 v47, v20, v53
	v_add_f32_e32 v22, v22, v56
	v_fmac_f32_e32 v32, 0x3e9e377a, v28
	v_fmac_f32_e32 v33, 0x3e9e377a, v29
	;; [unrolled: 1-line block ×4, first 2 shown]
	v_mul_f32_e32 v28, 0x3f4f1bbd, v34
	v_mul_f32_e32 v29, 0x3f4f1bbd, v35
	v_fmac_f32_e32 v31, 0x3f4f1bbd, v44
	v_fmac_f32_e32 v38, 0x3f4f1bbd, v43
	;; [unrolled: 1-line block ×4, first 2 shown]
	v_fma_f32 v42, 0x3f737871, v58, -v25
	v_fma_f32 v43, 0xbf737871, v27, -v26
	v_add_f32_e32 v20, v47, v22
	v_sub_f32_e32 v22, v47, v22
	v_fma_f32 v44, 0x3f167918, v35, -v28
	v_fma_f32 v47, 0xbf167918, v34, -v29
	v_add_f32_e32 v23, v32, v31
	v_add_f32_e32 v24, v33, v38
	;; [unrolled: 1-line block ×8, first 2 shown]
	v_sub_f32_e32 v31, v32, v31
	v_sub_f32_e32 v32, v33, v38
	;; [unrolled: 1-line block ×8, first 2 shown]
	ds_write2_b64 v117, v[19:20], v[23:24] offset1:5
	ds_write2_b64 v117, v[25:26], v[27:28] offset0:10 offset1:15
	ds_write2_b64 v117, v[29:30], v[21:22] offset0:20 offset1:25
	;; [unrolled: 1-line block ×4, first 2 shown]
	s_waitcnt lgkmcnt(0)
	s_barrier
	buffer_gl0_inv
	ds_read2_b64 v[32:35], v18 offset0:14 offset1:194
	ds_read_b64 v[48:49], v114 offset:9360
	ds_read2_b64 v[44:47], v40 offset0:4 offset1:139
	ds_read2_b64 v[40:43], v17 offset0:73 offset1:208
	ds_read2_b64 v[36:39], v114 offset1:135
                                        ; implicit-def: $vgpr50
                                        ; implicit-def: $vgpr52
	s_and_saveexec_b32 s0, vcc_lo
	s_cbranch_execz .LBB0_3
; %bb.2:
	ds_read_b64 v[64:65], v114 offset:3240
	ds_read_b64 v[50:51], v114 offset:6840
	;; [unrolled: 1-line block ×3, first 2 shown]
.LBB0_3:
	s_or_b32 exec_lo, exec_lo, s0
	v_and_b32_e32 v16, 0xff, v113
	v_lshrrev_b16 v17, 1, v125
	v_mov_b32_e32 v18, 0x147b
	v_add_co_u32 v103, s0, 0x10e, v113
	v_add_co_ci_u32_e64 v104, null, 0, 0, s0
	v_add_co_u32 v126, s0, 0x195, v113
	v_mul_lo_u16 v16, v16, 41
	v_mul_u32_u24_sdwa v17, v17, v18 dst_sel:DWORD dst_unused:UNUSED_PAD src0_sel:WORD_0 src1_sel:DWORD
	v_lshrrev_b16 v71, 1, v103
	v_lshrrev_b16 v72, 1, v126
	v_add_co_ci_u32_e64 v127, null, 0, 0, s0
	v_lshrrev_b16 v55, 11, v16
	v_lshrrev_b32_e32 v56, 17, v17
	v_mul_u32_u24_sdwa v16, v71, v18 dst_sel:DWORD dst_unused:UNUSED_PAD src0_sel:WORD_0 src1_sel:DWORD
	v_mul_u32_u24_sdwa v17, v72, v18 dst_sel:DWORD dst_unused:UNUSED_PAD src0_sel:WORD_0 src1_sel:DWORD
	v_mov_b32_e32 v61, 0x96
	v_mul_lo_u16 v18, v55, 50
	v_mul_lo_u16 v19, v56, 50
	v_lshrrev_b32_e32 v57, 17, v16
	v_lshrrev_b32_e32 v16, 17, v17
	v_mul_u32_u24_sdwa v55, v55, v61 dst_sel:DWORD dst_unused:UNUSED_PAD src0_sel:WORD_0 src1_sel:DWORD
	v_sub_nc_u16 v17, v113, v18
	v_sub_nc_u16 v58, v125, v19
	v_mul_lo_u16 v18, v57, 50
	v_mul_lo_u16 v16, v16, 50
	v_and_b32_e32 v59, 0xff, v17
	v_lshlrev_b16 v17, 4, v58
	v_sub_nc_u16 v60, v103, v18
	v_sub_nc_u16 v118, v126, v16
	v_mad_u16 v56, 0x96, v56, v58
	v_lshlrev_b32_e32 v16, 4, v59
	v_and_b32_e32 v17, 0xffff, v17
	v_lshlrev_b16 v18, 4, v60
	v_lshlrev_b16 v19, 4, v118
	v_mad_u16 v57, 0x96, v57, v60
	global_load_dwordx4 v[28:31], v16, s[14:15] offset:360
	v_add_co_u32 v16, s0, s14, v17
	v_add_co_ci_u32_e64 v17, null, s15, 0, s0
	v_and_b32_e32 v18, 0xffff, v18
	v_and_b32_e32 v19, 0xffff, v19
	v_add_lshl_u32 v122, v55, v59, 3
	global_load_dwordx4 v[24:27], v[16:17], off offset:360
	v_lshlrev_b32_sdwa v121, v54, v56 dst_sel:DWORD dst_unused:UNUSED_PAD src0_sel:DWORD src1_sel:WORD_0
	v_add_co_u32 v16, s0, s14, v18
	v_add_co_ci_u32_e64 v17, null, s15, 0, s0
	v_add_co_u32 v18, s0, s14, v19
	v_add_co_ci_u32_e64 v19, null, s15, 0, s0
	s_clause 0x1
	global_load_dwordx4 v[20:23], v[16:17], off offset:360
	global_load_dwordx4 v[16:19], v[18:19], off offset:360
	v_lshlrev_b32_sdwa v120, v54, v57 dst_sel:DWORD dst_unused:UNUSED_PAD src0_sel:DWORD src1_sel:WORD_0
	s_waitcnt vmcnt(0) lgkmcnt(0)
	s_barrier
	buffer_gl0_inv
	v_mul_f32_e32 v55, v34, v29
	v_mul_f32_e32 v56, v45, v31
	;; [unrolled: 1-line block ×4, first 2 shown]
	v_fmac_f32_e32 v55, v35, v28
	v_fma_f32 v35, v44, v30, -v56
	v_fma_f32 v34, v34, v28, -v54
	v_mul_f32_e32 v44, v41, v25
	v_mul_f32_e32 v56, v47, v27
	;; [unrolled: 1-line block ×4, first 2 shown]
	v_fmac_f32_e32 v57, v45, v30
	v_fma_f32 v40, v40, v24, -v44
	v_fma_f32 v44, v46, v26, -v56
	v_fmac_f32_e32 v58, v47, v26
	v_fmac_f32_e32 v54, v41, v24
	v_add_f32_e32 v62, v36, v34
	v_add_f32_e32 v63, v34, v35
	v_mul_f32_e32 v46, v49, v23
	v_mul_f32_e32 v47, v48, v23
	;; [unrolled: 1-line block ×8, first 2 shown]
	v_fma_f32 v46, v48, v22, -v46
	v_fmac_f32_e32 v47, v49, v22
	v_fma_f32 v48, v50, v16, -v56
	v_fmac_f32_e32 v59, v51, v16
	;; [unrolled: 2-line block ×3, first 2 shown]
	v_sub_f32_e32 v66, v55, v57
	v_add_f32_e32 v67, v37, v55
	v_add_f32_e32 v55, v55, v57
	v_fma_f32 v69, v42, v20, -v41
	v_fmac_f32_e32 v45, v43, v20
	v_add_f32_e32 v52, v54, v58
	v_sub_f32_e32 v68, v34, v35
	v_add_f32_e32 v34, v62, v35
	v_fma_f32 v36, -0.5, v63, v36
	v_add_f32_e32 v43, v40, v44
	v_add_f32_e32 v51, v39, v54
	;; [unrolled: 1-line block ×3, first 2 shown]
	v_sub_f32_e32 v62, v59, v61
	v_add_f32_e32 v63, v65, v59
	v_add_f32_e32 v59, v59, v61
	v_fma_f32 v37, -0.5, v55, v37
	v_fmac_f32_e32 v39, -0.5, v52
	v_add_f32_e32 v52, v69, v46
	v_add_f32_e32 v56, v45, v47
	;; [unrolled: 1-line block ×3, first 2 shown]
	v_sub_f32_e32 v50, v54, v58
	v_sub_f32_e32 v53, v40, v44
	v_fma_f32 v38, -0.5, v43, v38
	v_add_f32_e32 v43, v51, v58
	v_add_f32_e32 v58, v64, v48
	v_sub_f32_e32 v48, v48, v49
	v_fmac_f32_e32 v64, -0.5, v60
	v_fmac_f32_e32 v65, -0.5, v59
	v_add_f32_e32 v35, v67, v57
	v_fmamk_f32 v40, v66, 0x3f5db3d7, v36
	v_fmamk_f32 v41, v68, 0xbf5db3d7, v37
	v_add_f32_e32 v51, v32, v69
	v_sub_f32_e32 v54, v45, v47
	v_add_f32_e32 v55, v33, v45
	v_sub_f32_e32 v57, v69, v46
	v_fma_f32 v32, -0.5, v52, v32
	v_fmac_f32_e32 v33, -0.5, v56
	v_fmac_f32_e32 v36, 0xbf5db3d7, v66
	v_fmac_f32_e32 v37, 0x3f5db3d7, v68
	v_add_f32_e32 v42, v42, v44
	v_fmamk_f32 v44, v50, 0x3f5db3d7, v38
	v_fmamk_f32 v45, v53, 0xbf5db3d7, v39
	v_add_f32_e32 v105, v58, v49
	v_add_f32_e32 v106, v63, v61
	v_fmamk_f32 v66, v62, 0x3f5db3d7, v64
	v_fmac_f32_e32 v64, 0xbf5db3d7, v62
	v_fmamk_f32 v67, v48, 0xbf5db3d7, v65
	v_fmac_f32_e32 v65, 0x3f5db3d7, v48
	v_fmac_f32_e32 v38, 0xbf5db3d7, v50
	;; [unrolled: 1-line block ×3, first 2 shown]
	v_add_f32_e32 v46, v51, v46
	v_add_f32_e32 v47, v55, v47
	ds_write2_b64 v122, v[34:35], v[40:41] offset1:50
	ds_write_b64 v122, v[36:37] offset:800
	v_fmamk_f32 v34, v54, 0x3f5db3d7, v32
	v_fmamk_f32 v35, v57, 0xbf5db3d7, v33
	v_fmac_f32_e32 v32, 0xbf5db3d7, v54
	v_fmac_f32_e32 v33, 0x3f5db3d7, v57
	ds_write2_b64 v121, v[42:43], v[44:45] offset1:50
	ds_write_b64 v121, v[38:39] offset:800
	ds_write2_b64 v120, v[46:47], v[34:35] offset1:50
	ds_write_b64 v120, v[32:33] offset:800
	s_and_saveexec_b32 s0, vcc_lo
	s_cbranch_execz .LBB0_5
; %bb.4:
	v_mov_b32_e32 v32, 3
	v_lshlrev_b32_sdwa v32, v32, v118 dst_sel:DWORD dst_unused:UNUSED_PAD src0_sel:DWORD src1_sel:WORD_0
	v_add_nc_u32_e32 v33, 0x2000, v32
	ds_write2_b64 v33, v[105:106], v[66:67] offset0:176 offset1:226
	ds_write_b64 v32, v[64:65] offset:10400
.LBB0_5:
	s_or_b32 exec_lo, exec_lo, s0
	v_add_nc_u32_e32 v32, 0x800, v114
	v_add_nc_u32_e32 v33, 0x1c00, v114
	;; [unrolled: 1-line block ×3, first 2 shown]
	s_waitcnt lgkmcnt(0)
	s_barrier
	buffer_gl0_inv
	ds_read2_b64 v[52:55], v114 offset1:135
	ds_read2_b64 v[36:39], v32 offset0:14 offset1:194
	ds_read2_b64 v[60:63], v33 offset0:4 offset1:139
	;; [unrolled: 1-line block ×3, first 2 shown]
	ds_read_b64 v[68:69], v114 offset:9360
	s_and_saveexec_b32 s0, vcc_lo
	s_cbranch_execz .LBB0_7
; %bb.6:
	ds_read_b64 v[105:106], v114 offset:3240
	ds_read_b64 v[66:67], v114 offset:6840
	;; [unrolled: 1-line block ×3, first 2 shown]
.LBB0_7:
	s_or_b32 exec_lo, exec_lo, s0
	v_add_co_u32 v40, s0, v113, -15
	v_mov_b32_e32 v42, 0xda75
	v_add_co_ci_u32_e64 v41, null, 0, -1, s0
	v_cmp_gt_u16_e64 s0, 15, v113
	v_lshlrev_b32_e32 v75, 4, v113
	v_mul_u32_u24_sdwa v43, v71, v42 dst_sel:DWORD dst_unused:UNUSED_PAD src0_sel:WORD_0 src1_sel:DWORD
	v_mul_u32_u24_sdwa v42, v72, v42 dst_sel:DWORD dst_unused:UNUSED_PAD src0_sel:WORD_0 src1_sel:DWORD
	v_cndmask_b32_e64 v74, v41, v70, s0
	v_cndmask_b32_e64 v73, v40, v125, s0
	v_lshrrev_b32_e32 v71, 22, v43
	v_lshrrev_b32_e32 v42, 22, v42
	global_load_dwordx4 v[32:35], v75, s[14:15] offset:1160
	v_mov_b32_e32 v70, 3
	v_lshlrev_b64 v[40:41], 4, v[73:74]
	v_mul_lo_u16 v43, 0x96, v71
	v_mul_lo_u16 v42, 0x96, v42
	v_add_co_u32 v40, s0, s14, v40
	v_add_co_ci_u32_e64 v41, s0, s15, v41, s0
	v_sub_nc_u16 v72, v103, v43
	v_sub_nc_u16 v119, v126, v42
	global_load_dwordx4 v[48:51], v[40:41], off offset:1160
	v_lshlrev_b16 v40, 4, v72
	v_lshlrev_b16 v41, 4, v119
	v_mad_u16 v71, 0x1c2, v71, v72
	v_and_b32_e32 v40, 0xffff, v40
	v_and_b32_e32 v42, 0xffff, v41
	v_lshlrev_b32_sdwa v123, v70, v71 dst_sel:DWORD dst_unused:UNUSED_PAD src0_sel:DWORD src1_sel:WORD_0
	v_add_co_u32 v40, s0, s14, v40
	v_add_co_ci_u32_e64 v41, null, s15, 0, s0
	v_add_co_u32 v42, s0, s14, v42
	v_add_co_ci_u32_e64 v43, null, s15, 0, s0
	s_clause 0x1
	global_load_dwordx4 v[44:47], v[40:41], off offset:1160
	global_load_dwordx4 v[40:43], v[42:43], off offset:1160
	v_cmp_lt_u16_e64 s0, 14, v113
	s_waitcnt vmcnt(0) lgkmcnt(0)
	s_barrier
	buffer_gl0_inv
	v_cndmask_b32_e64 v74, 0, 0x1c2, s0
	v_add_co_u32 v129, s0, s14, v75
	v_add_co_ci_u32_e64 v130, null, s15, 0, s0
	v_add_lshl_u32 v124, v73, v74, 3
	v_mul_f32_e32 v71, v39, v33
	v_mul_f32_e32 v72, v38, v33
	;; [unrolled: 1-line block ×4, first 2 shown]
	v_fma_f32 v38, v38, v32, -v71
	v_fmac_f32_e32 v72, v39, v32
	v_fma_f32 v39, v60, v34, -v73
	v_fmac_f32_e32 v74, v61, v34
	v_add_f32_e32 v60, v52, v38
	v_add_f32_e32 v73, v53, v72
	;; [unrolled: 1-line block ×3, first 2 shown]
	v_sub_f32_e32 v71, v72, v74
	v_add_f32_e32 v72, v72, v74
	v_sub_f32_e32 v75, v38, v39
	v_add_f32_e32 v38, v60, v39
	v_fma_f32 v52, -0.5, v61, v52
	v_add_f32_e32 v39, v73, v74
	v_fma_f32 v53, -0.5, v72, v53
	v_mul_f32_e32 v72, v57, v49
	v_mul_f32_e32 v73, v56, v49
	;; [unrolled: 1-line block ×4, first 2 shown]
	v_fmamk_f32 v60, v71, 0x3f5db3d7, v52
	v_fmamk_f32 v61, v75, 0xbf5db3d7, v53
	v_fma_f32 v56, v56, v48, -v72
	v_fmac_f32_e32 v73, v57, v48
	v_fma_f32 v57, v62, v50, -v74
	v_fmac_f32_e32 v76, v63, v50
	v_fmac_f32_e32 v52, 0xbf5db3d7, v71
	;; [unrolled: 1-line block ×3, first 2 shown]
	ds_write2_b64 v114, v[38:39], v[60:61] offset1:150
	ds_write_b64 v114, v[52:53] offset:2400
	v_add_f32_e32 v38, v54, v56
	v_add_f32_e32 v39, v56, v57
	;; [unrolled: 1-line block ×3, first 2 shown]
	v_sub_f32_e32 v53, v73, v76
	v_add_f32_e32 v52, v55, v73
	v_sub_f32_e32 v56, v56, v57
	v_add_f32_e32 v38, v38, v57
	v_fma_f32 v54, -0.5, v39, v54
	v_fmac_f32_e32 v55, -0.5, v60
	v_mul_f32_e32 v57, v59, v45
	v_mul_f32_e32 v60, v58, v45
	;; [unrolled: 1-line block ×8, first 2 shown]
	v_add_f32_e32 v39, v52, v76
	v_fmamk_f32 v52, v53, 0x3f5db3d7, v54
	v_fmac_f32_e32 v54, 0xbf5db3d7, v53
	v_fmamk_f32 v53, v56, 0xbf5db3d7, v55
	v_fmac_f32_e32 v55, 0x3f5db3d7, v56
	v_fma_f32 v56, v58, v44, -v57
	v_fmac_f32_e32 v60, v59, v44
	v_fma_f32 v58, v66, v40, -v63
	;; [unrolled: 2-line block ×4, first 2 shown]
	v_fmac_f32_e32 v62, v69, v46
	v_add_f32_e32 v72, v106, v71
	v_add_f32_e32 v68, v58, v59
	v_sub_f32_e32 v69, v71, v73
	v_add_f32_e32 v71, v71, v73
	v_add_f32_e32 v63, v56, v57
	v_sub_f32_e32 v64, v60, v62
	v_add_f32_e32 v65, v37, v60
	v_add_f32_e32 v60, v60, v62
	;; [unrolled: 1-line block ×3, first 2 shown]
	v_sub_f32_e32 v74, v58, v59
	v_fmac_f32_e32 v105, -0.5, v68
	v_fmac_f32_e32 v106, -0.5, v71
	v_add_f32_e32 v61, v36, v56
	v_sub_f32_e32 v66, v56, v57
	v_fma_f32 v36, -0.5, v63, v36
	v_fmac_f32_e32 v37, -0.5, v60
	v_add_f32_e32 v107, v67, v59
	v_add_f32_e32 v108, v72, v73
	v_fmamk_f32 v109, v69, 0x3f5db3d7, v105
	v_fmac_f32_e32 v105, 0xbf5db3d7, v69
	v_fmamk_f32 v110, v74, 0xbf5db3d7, v106
	v_fmac_f32_e32 v106, 0x3f5db3d7, v74
	v_add_f32_e32 v56, v61, v57
	v_add_f32_e32 v57, v65, v62
	v_fmamk_f32 v58, v64, 0x3f5db3d7, v36
	v_fmamk_f32 v59, v66, 0xbf5db3d7, v37
	v_fmac_f32_e32 v36, 0xbf5db3d7, v64
	v_fmac_f32_e32 v37, 0x3f5db3d7, v66
	ds_write2_b64 v124, v[38:39], v[52:53] offset1:150
	ds_write_b64 v124, v[54:55] offset:2400
	ds_write2_b64 v123, v[56:57], v[58:59] offset1:150
	ds_write_b64 v123, v[36:37] offset:2400
	s_and_saveexec_b32 s0, vcc_lo
	s_cbranch_execz .LBB0_9
; %bb.8:
	v_lshlrev_b32_sdwa v36, v70, v119 dst_sel:DWORD dst_unused:UNUSED_PAD src0_sel:DWORD src1_sel:WORD_0
	v_add_nc_u32_e32 v37, 0x1c00, v36
	ds_write2_b64 v37, v[107:108], v[109:110] offset0:4 offset1:154
	ds_write_b64 v36, v[105:106] offset:9600
.LBB0_9:
	s_or_b32 exec_lo, exec_lo, s0
	v_add_nc_u32_e32 v36, 0x800, v114
	v_add_nc_u32_e32 v37, 0x1c00, v114
	v_add_nc_u32_e32 v128, 0x1000, v114
	s_waitcnt lgkmcnt(0)
	s_barrier
	buffer_gl0_inv
	ds_read2_b64 v[64:67], v114 offset1:135
	ds_read2_b64 v[68:71], v36 offset0:14 offset1:194
	ds_read2_b64 v[76:79], v37 offset0:4 offset1:139
	;; [unrolled: 1-line block ×3, first 2 shown]
	ds_read_b64 v[111:112], v114 offset:9360
	s_and_saveexec_b32 s0, vcc_lo
	s_cbranch_execz .LBB0_11
; %bb.10:
	ds_read_b64 v[107:108], v114 offset:3240
	ds_read_b64 v[109:110], v114 offset:6840
	;; [unrolled: 1-line block ×3, first 2 shown]
.LBB0_11:
	s_or_b32 exec_lo, exec_lo, s0
	v_lshlrev_b32_e32 v38, 4, v125
	v_add_co_u32 v36, s0, 0x800, v129
	v_add_co_ci_u32_e64 v37, s0, 0, v130, s0
	v_add_co_u32 v38, s0, s14, v38
	v_add_co_ci_u32_e64 v39, null, s15, 0, s0
	global_load_dwordx4 v[52:55], v[36:37], off offset:1512
	v_add_co_u32 v38, s0, 0x800, v38
	v_add_co_ci_u32_e64 v39, s0, 0, v39, s0
	global_load_dwordx4 v[56:59], v[38:39], off offset:1512
	v_lshlrev_b64 v[36:37], 4, v[103:104]
	v_add_nc_u32_e32 v103, 0x2000, v114
	v_add_co_u32 v36, s0, s14, v36
	v_add_co_ci_u32_e64 v37, s0, s15, v37, s0
	v_add_co_u32 v36, s0, 0x800, v36
	v_add_co_ci_u32_e64 v37, s0, 0, v37, s0
	v_add_co_u32 v38, s0, 0xffffffd3, v113
	v_add_co_ci_u32_e64 v39, null, 0, -1, s0
	global_load_dwordx4 v[60:63], v[36:37], off offset:1512
	v_cndmask_b32_e32 v36, v38, v126, vcc_lo
	v_cndmask_b32_e32 v37, v39, v127, vcc_lo
	v_lshlrev_b64 v[36:37], 4, v[36:37]
	v_add_co_u32 v36, s0, s14, v36
	v_add_co_ci_u32_e64 v37, s0, s15, v37, s0
	v_add_co_u32 v36, s0, 0x800, v36
	v_add_co_ci_u32_e64 v37, s0, 0, v37, s0
	global_load_dwordx4 v[36:39], v[36:37], off offset:1512
	s_waitcnt vmcnt(3) lgkmcnt(3)
	v_mul_f32_e32 v104, v71, v53
	v_mul_f32_e32 v125, v70, v53
	s_waitcnt lgkmcnt(2)
	v_mul_f32_e32 v126, v77, v55
	v_mul_f32_e32 v127, v76, v55
	v_fma_f32 v70, v70, v52, -v104
	v_fmac_f32_e32 v125, v71, v52
	v_fma_f32 v71, v76, v54, -v126
	v_fmac_f32_e32 v127, v77, v54
	s_waitcnt vmcnt(2) lgkmcnt(1)
	v_mul_f32_e32 v76, v73, v57
	v_mul_f32_e32 v104, v72, v57
	;; [unrolled: 1-line block ×4, first 2 shown]
	v_add_f32_e32 v130, v70, v71
	v_sub_f32_e32 v131, v125, v127
	v_add_f32_e32 v132, v65, v125
	v_add_f32_e32 v125, v125, v127
	;; [unrolled: 1-line block ×3, first 2 shown]
	v_sub_f32_e32 v70, v70, v71
	v_fma_f32 v72, v72, v56, -v76
	v_fmac_f32_e32 v104, v73, v56
	v_fma_f32 v137, v78, v58, -v77
	v_fmac_f32_e32 v126, v79, v58
	v_fma_f32 v78, -0.5, v130, v64
	v_fma_f32 v79, -0.5, v125, v65
	v_add_f32_e32 v76, v129, v71
	v_sub_f32_e32 v129, v72, v137
	v_add_f32_e32 v77, v132, v127
	s_waitcnt vmcnt(1)
	v_mul_f32_e32 v133, v75, v61
	v_mul_f32_e32 v134, v74, v61
	s_waitcnt lgkmcnt(0)
	v_mul_f32_e32 v136, v111, v63
	v_fmamk_f32 v64, v131, 0x3f5db3d7, v78
	v_fmac_f32_e32 v78, 0xbf5db3d7, v131
	v_fma_f32 v71, v74, v60, -v133
	v_fmac_f32_e32 v134, v75, v60
	v_fmamk_f32 v65, v70, 0xbf5db3d7, v79
	v_fmac_f32_e32 v79, 0x3f5db3d7, v70
	v_add_f32_e32 v70, v66, v72
	v_add_f32_e32 v74, v72, v137
	;; [unrolled: 1-line block ×3, first 2 shown]
	v_mul_f32_e32 v135, v112, v63
	v_fmac_f32_e32 v136, v112, v62
	v_sub_f32_e32 v127, v104, v126
	v_fma_f32 v66, -0.5, v74, v66
	v_add_f32_e32 v112, v75, v126
	v_fma_f32 v125, v111, v62, -v135
	v_sub_f32_e32 v135, v134, v136
	v_add_f32_e32 v138, v69, v134
	v_add_f32_e32 v134, v134, v136
	ds_write_b64 v114, v[64:65] offset:3600
	v_add_f32_e32 v104, v104, v126
	v_add_f32_e32 v133, v71, v125
	;; [unrolled: 1-line block ×3, first 2 shown]
	v_sub_f32_e32 v71, v71, v125
	s_waitcnt vmcnt(0)
	v_mul_f32_e32 v130, v110, v37
	v_mul_f32_e32 v73, v109, v37
	;; [unrolled: 1-line block ×4, first 2 shown]
	v_fmac_f32_e32 v69, -0.5, v134
	v_fma_f32 v74, v109, v36, -v130
	v_fmac_f32_e32 v73, v110, v36
	v_fma_f32 v75, v105, v38, -v131
	v_fmac_f32_e32 v72, v106, v38
	v_fmamk_f32 v109, v127, 0x3f5db3d7, v66
	v_fmac_f32_e32 v66, 0xbf5db3d7, v127
	v_fmac_f32_e32 v67, -0.5, v104
	v_add_f32_e32 v64, v74, v75
	v_add_f32_e32 v65, v73, v72
	v_sub_f32_e32 v106, v73, v72
	v_sub_f32_e32 v127, v74, v75
	v_fma_f32 v68, -0.5, v133, v68
	v_fma_f32 v64, -0.5, v64, v107
	;; [unrolled: 1-line block ×3, first 2 shown]
	v_add_f32_e32 v111, v70, v137
	v_fmamk_f32 v126, v71, 0xbf5db3d7, v69
	v_fmac_f32_e32 v69, 0x3f5db3d7, v71
	v_fmamk_f32 v70, v106, 0x3f5db3d7, v64
	v_fmac_f32_e32 v64, 0xbf5db3d7, v106
	;; [unrolled: 2-line block ×3, first 2 shown]
	v_add_f32_e32 v104, v132, v125
	v_add_f32_e32 v105, v138, v136
	v_fmamk_f32 v110, v129, 0xbf5db3d7, v67
	v_fmamk_f32 v125, v135, 0x3f5db3d7, v68
	v_fmac_f32_e32 v67, 0x3f5db3d7, v129
	v_fmac_f32_e32 v68, 0xbf5db3d7, v135
	ds_write_b64 v114, v[78:79] offset:7200
	ds_write2_b64 v114, v[76:77], v[111:112] offset1:135
	ds_write_b64 v114, v[104:105] offset:2160
	ds_write2_b64 v128, v[109:110], v[125:126] offset0:73 offset1:208
	ds_write2_b64 v103, v[66:67], v[68:69] offset0:11 offset1:146
	s_and_saveexec_b32 s0, vcc_lo
	s_cbranch_execz .LBB0_13
; %bb.12:
	v_add_f32_e32 v66, v108, v73
	v_add_f32_e32 v68, v107, v74
	;; [unrolled: 1-line block ×4, first 2 shown]
	ds_write_b64 v114, v[70:71] offset:6840
	ds_write_b64 v114, v[66:67] offset:3240
	;; [unrolled: 1-line block ×3, first 2 shown]
.LBB0_13:
	s_or_b32 exec_lo, exec_lo, s0
	v_lshlrev_b32_e32 v66, 3, v113
	s_waitcnt lgkmcnt(0)
	s_barrier
	buffer_gl0_inv
	v_add_nc_u32_e32 v147, 0x1800, v114
	v_add_co_u32 v104, s0, s12, v66
	v_add_co_ci_u32_e64 v105, null, s13, 0, s0
	v_add_nc_u32_e32 v148, 0x400, v114
	v_add_co_u32 v66, s0, 0x2800, v104
	v_add_co_ci_u32_e64 v67, s0, 0, v105, s0
	v_add_co_u32 v68, s0, 0x2a30, v104
	v_add_co_ci_u32_e64 v69, s0, 0, v105, s0
	global_load_dwordx2 v[66:67], v[66:67], off offset:560
	v_add_co_u32 v72, s1, 0x3000, v104
	global_load_dwordx2 v[129:130], v[68:69], off offset:1080
	v_add_co_u32 v74, s2, 0x3800, v104
	v_add_co_u32 v76, s0, 0x4000, v104
	;; [unrolled: 1-line block ×3, first 2 shown]
	v_add_co_ci_u32_e64 v73, s1, 0, v105, s1
	v_add_co_ci_u32_e64 v75, s1, 0, v105, s2
	;; [unrolled: 1-line block ×3, first 2 shown]
	global_load_dwordx2 v[131:132], v[72:73], off offset:672
	v_add_co_ci_u32_e64 v79, s0, 0, v105, s3
	v_add_co_u32 v68, s0, 0x5000, v104
	s_clause 0x3
	global_load_dwordx2 v[133:134], v[74:75], off offset:784
	global_load_dwordx2 v[135:136], v[76:77], off offset:896
	;; [unrolled: 1-line block ×4, first 2 shown]
	v_add_co_ci_u32_e64 v69, s0, 0, v105, s0
	s_clause 0x2
	global_load_dwordx2 v[141:142], v[74:75], off offset:1864
	global_load_dwordx2 v[143:144], v[76:77], off offset:1976
	;; [unrolled: 1-line block ×3, first 2 shown]
	ds_read2_b64 v[72:75], v114 offset1:135
	v_add_nc_u32_e32 v69, 0x800, v114
	v_add_nc_u32_e32 v149, 0xc00, v114
	;; [unrolled: 1-line block ×3, first 2 shown]
	s_waitcnt vmcnt(9) lgkmcnt(0)
	v_mul_f32_e32 v68, v73, v67
	v_mul_f32_e32 v77, v72, v67
	s_waitcnt vmcnt(8)
	v_mul_f32_e32 v67, v74, v130
	v_fma_f32 v76, v72, v66, -v68
	v_fmac_f32_e32 v77, v73, v66
	v_add_nc_u32_e32 v68, 0x1000, v114
	v_mul_f32_e32 v66, v75, v130
	v_fmac_f32_e32 v67, v75, v129
	v_add_nc_u32_e32 v72, 0x1c00, v114
	ds_write_b64 v114, v[76:77]
	ds_read2_b64 v[76:79], v69 offset0:14 offset1:149
	ds_read2_b64 v[104:107], v68 offset0:28 offset1:163
	;; [unrolled: 1-line block ×4, first 2 shown]
	v_fma_f32 v66, v74, v129, -v66
	s_waitcnt vmcnt(7) lgkmcnt(3)
	v_mul_f32_e32 v73, v77, v132
	v_mul_f32_e32 v74, v76, v132
	s_waitcnt vmcnt(6) lgkmcnt(2)
	v_mul_f32_e32 v75, v105, v134
	v_mul_f32_e32 v130, v104, v134
	;; [unrolled: 3-line block ×3, first 2 shown]
	s_waitcnt vmcnt(3)
	v_mul_f32_e32 v153, v79, v140
	v_mul_f32_e32 v136, v78, v140
	s_waitcnt lgkmcnt(0)
	v_mul_f32_e32 v152, v126, v138
	v_mul_f32_e32 v134, v125, v138
	s_waitcnt vmcnt(2)
	v_mul_f32_e32 v154, v107, v142
	v_mul_f32_e32 v138, v106, v142
	s_waitcnt vmcnt(1)
	;; [unrolled: 3-line block ×3, first 2 shown]
	v_mul_f32_e32 v144, v128, v146
	v_mul_f32_e32 v112, v127, v146
	v_fma_f32 v73, v76, v131, -v73
	v_fmac_f32_e32 v74, v77, v131
	v_fma_f32 v129, v104, v133, -v75
	v_fmac_f32_e32 v130, v105, v133
	;; [unrolled: 2-line block ×8, first 2 shown]
	ds_write2_b64 v148, v[66:67], v[73:74] offset0:7 offset1:142
	ds_write2_b64 v149, v[135:136], v[129:130] offset0:21 offset1:156
	;; [unrolled: 1-line block ×4, first 2 shown]
	ds_write_b64 v114, v[111:112] offset:9720
	s_waitcnt lgkmcnt(0)
	s_barrier
	buffer_gl0_inv
	ds_read2_b64 v[73:76], v114 offset1:135
	ds_read2_b64 v[104:107], v69 offset0:14 offset1:149
	ds_read2_b64 v[108:111], v68 offset0:28 offset1:163
	;; [unrolled: 1-line block ×4, first 2 shown]
	s_waitcnt lgkmcnt(0)
	s_barrier
	buffer_gl0_inv
	v_add_f32_e32 v66, v73, v104
	v_sub_f32_e32 v77, v104, v108
	v_add_f32_e32 v67, v108, v125
	v_add_f32_e32 v137, v109, v126
	;; [unrolled: 1-line block ×4, first 2 shown]
	v_sub_f32_e32 v78, v129, v125
	v_add_f32_e32 v136, v74, v105
	v_add_f32_e32 v144, v110, v127
	;; [unrolled: 1-line block ×7, first 2 shown]
	v_sub_f32_e32 v79, v105, v130
	v_sub_f32_e32 v134, v108, v104
	;; [unrolled: 1-line block ×9, first 2 shown]
	v_add_f32_e32 v108, v66, v108
	v_fma_f32 v66, -0.5, v67, v73
	v_fma_f32 v67, -0.5, v137, v74
	v_sub_f32_e32 v112, v109, v126
	v_sub_f32_e32 v145, v107, v132
	;; [unrolled: 1-line block ×9, first 2 shown]
	v_fma_f32 v73, -0.5, v133, v73
	v_fma_f32 v74, -0.5, v141, v74
	v_add_f32_e32 v160, v77, v78
	v_add_f32_e32 v109, v136, v109
	v_fma_f32 v77, -0.5, v144, v75
	v_fma_f32 v78, -0.5, v154, v76
	v_sub_f32_e32 v146, v111, v128
	v_sub_f32_e32 v156, v110, v127
	v_add_f32_e32 v110, v143, v110
	v_fma_f32 v75, -0.5, v150, v75
	v_add_f32_e32 v111, v153, v111
	v_fmac_f32_e32 v76, -0.5, v158
	v_add_f32_e32 v133, v134, v135
	v_add_f32_e32 v134, v104, v140
	;; [unrolled: 1-line block ×3, first 2 shown]
	v_fmamk_f32 v104, v79, 0xbf737871, v66
	v_fmamk_f32 v105, v138, 0x3f737871, v67
	v_add_f32_e32 v140, v106, v157
	v_add_f32_e32 v141, v107, v159
	v_fmamk_f32 v106, v112, 0x3f737871, v73
	v_fmac_f32_e32 v73, 0xbf737871, v112
	v_fmamk_f32 v107, v139, 0xbf737871, v74
	v_fmac_f32_e32 v74, 0x3f737871, v139
	v_fmac_f32_e32 v66, 0x3f737871, v79
	;; [unrolled: 1-line block ×3, first 2 shown]
	v_sub_f32_e32 v149, v131, v127
	v_add_f32_e32 v125, v108, v125
	v_add_f32_e32 v126, v109, v126
	v_fmamk_f32 v108, v145, 0xbf737871, v77
	v_fmamk_f32 v109, v155, 0x3f737871, v78
	v_sub_f32_e32 v152, v127, v131
	v_add_f32_e32 v127, v110, v127
	v_fmamk_f32 v110, v146, 0x3f737871, v75
	v_fmac_f32_e32 v75, 0xbf737871, v146
	v_add_f32_e32 v128, v111, v128
	v_fmamk_f32 v111, v156, 0xbf737871, v76
	v_fmac_f32_e32 v76, 0x3f737871, v156
	v_fmac_f32_e32 v77, 0x3f737871, v145
	;; [unrolled: 1-line block ×11, first 2 shown]
	v_add_f32_e32 v136, v148, v149
	v_fmac_f32_e32 v108, 0xbf167918, v146
	v_fmac_f32_e32 v109, 0x3f167918, v156
	v_add_f32_e32 v137, v151, v152
	v_fmac_f32_e32 v110, 0xbf167918, v145
	v_fmac_f32_e32 v75, 0x3f167918, v145
	;; [unrolled: 1-line block ×4, first 2 shown]
	v_add_f32_e32 v125, v125, v129
	v_add_f32_e32 v126, v126, v130
	v_fmac_f32_e32 v77, 0x3f167918, v146
	v_fmac_f32_e32 v78, 0xbf167918, v156
	;; [unrolled: 1-line block ×10, first 2 shown]
	v_add_f32_e32 v127, v127, v131
	v_add_f32_e32 v128, v128, v132
	v_fmac_f32_e32 v108, 0x3e9e377a, v136
	v_fmac_f32_e32 v109, 0x3e9e377a, v140
	v_fmac_f32_e32 v110, 0x3e9e377a, v137
	v_fmac_f32_e32 v75, 0x3e9e377a, v137
	v_fmac_f32_e32 v111, 0x3e9e377a, v141
	v_fmac_f32_e32 v76, 0x3e9e377a, v141
	v_fmac_f32_e32 v77, 0x3e9e377a, v136
	v_fmac_f32_e32 v78, 0x3e9e377a, v140
	ds_write2_b64 v116, v[125:126], v[104:105] offset1:1
	ds_write2_b64 v116, v[106:107], v[73:74] offset0:2 offset1:3
	ds_write_b64 v116, v[66:67] offset:32
	ds_write2_b64 v115, v[127:128], v[108:109] offset1:1
	ds_write2_b64 v115, v[110:111], v[75:76] offset0:2 offset1:3
	ds_write_b64 v115, v[77:78] offset:32
	s_waitcnt lgkmcnt(0)
	s_barrier
	buffer_gl0_inv
	ds_read2_b64 v[73:76], v114 offset1:135
	ds_read2_b64 v[104:107], v69 offset0:14 offset1:149
	ds_read2_b64 v[108:111], v68 offset0:28 offset1:163
	;; [unrolled: 1-line block ×4, first 2 shown]
	s_waitcnt lgkmcnt(0)
	s_barrier
	buffer_gl0_inv
	v_mul_f32_e32 v66, v9, v76
	v_mul_f32_e32 v67, v11, v105
	;; [unrolled: 1-line block ×18, first 2 shown]
	v_fmac_f32_e32 v67, v10, v104
	v_fmac_f32_e32 v77, v4, v106
	v_fma_f32 v4, v4, v107, -v5
	v_fmac_f32_e32 v78, v6, v108
	v_fma_f32 v5, v6, v109, -v7
	;; [unrolled: 2-line block ×4, first 2 shown]
	v_fma_f32 v2, v12, v128, -v13
	v_fmac_f32_e32 v115, v14, v129
	v_fmac_f32_e32 v66, v8, v75
	v_fma_f32 v8, v8, v76, -v9
	v_fma_f32 v9, v10, v105, -v11
	;; [unrolled: 1-line block ×3, first 2 shown]
	v_fmac_f32_e32 v112, v12, v127
	v_fma_f32 v3, v14, v130, -v15
	v_fmac_f32_e32 v116, v101, v131
	v_add_f32_e32 v7, v73, v67
	v_add_f32_e32 v10, v78, v103
	v_sub_f32_e32 v13, v67, v78
	v_sub_f32_e32 v14, v115, v103
	;; [unrolled: 1-line block ×4, first 2 shown]
	v_add_f32_e32 v102, v5, v1
	v_add_f32_e32 v132, v0, v2
	v_add_f32_e32 v15, v67, v115
	v_add_f32_e32 v101, v74, v9
	v_add_f32_e32 v109, v66, v77
	v_add_f32_e32 v136, v4, v6
	v_sub_f32_e32 v104, v78, v103
	v_add_f32_e32 v110, v79, v112
	v_sub_f32_e32 v126, v77, v79
	v_add_f32_e32 v128, v77, v116
	v_sub_f32_e32 v129, v79, v77
	v_sub_f32_e32 v77, v77, v116
	v_add_f32_e32 v7, v7, v78
	v_fma_f32 v78, -0.5, v10, v73
	v_add_f32_e32 v10, v13, v14
	v_add_f32_e32 v14, v75, v76
	v_fma_f32 v75, -0.5, v102, v74
	v_fma_f32 v102, -0.5, v132, v8
	v_sub_f32_e32 v11, v9, v3
	v_sub_f32_e32 v12, v5, v1
	;; [unrolled: 1-line block ×3, first 2 shown]
	v_add_f32_e32 v107, v9, v3
	v_sub_f32_e32 v9, v5, v9
	v_add_f32_e32 v131, v8, v4
	v_sub_f32_e32 v133, v79, v112
	v_fma_f32 v13, -0.5, v15, v73
	v_add_f32_e32 v5, v101, v5
	v_add_f32_e32 v73, v109, v79
	v_fmac_f32_e32 v8, -0.5, v136
	v_sub_f32_e32 v106, v3, v1
	v_sub_f32_e32 v111, v4, v6
	;; [unrolled: 1-line block ×4, first 2 shown]
	v_fma_f32 v76, -0.5, v110, v66
	v_fmamk_f32 v110, v77, 0x3f737871, v102
	v_sub_f32_e32 v67, v67, v115
	v_sub_f32_e32 v108, v1, v3
	;; [unrolled: 1-line block ×7, first 2 shown]
	v_fmac_f32_e32 v66, -0.5, v128
	v_add_f32_e32 v1, v5, v1
	v_add_f32_e32 v5, v73, v112
	v_fmamk_f32 v112, v133, 0xbf737871, v8
	v_fmac_f32_e32 v8, 0x3f737871, v133
	v_fmac_f32_e32 v102, 0xbf737871, v77
	v_add_f32_e32 v15, v105, v106
	v_add_f32_e32 v105, v134, v135
	v_fmamk_f32 v73, v111, 0xbf737871, v76
	v_fmac_f32_e32 v110, 0x3f167918, v133
	v_fma_f32 v74, -0.5, v107, v74
	v_add_f32_e32 v4, v4, v137
	v_fmamk_f32 v106, v12, 0x3f737871, v13
	v_fmac_f32_e32 v13, 0xbf737871, v12
	v_fmamk_f32 v107, v67, 0x3f737871, v75
	v_fmac_f32_e32 v75, 0xbf737871, v67
	v_fmac_f32_e32 v76, 0x3f737871, v111
	v_fmamk_f32 v109, v125, 0x3f737871, v66
	v_fmac_f32_e32 v66, 0xbf737871, v125
	v_fmac_f32_e32 v112, 0x3f167918, v77
	;; [unrolled: 1-line block ×4, first 2 shown]
	v_add_f32_e32 v79, v126, v127
	v_add_f32_e32 v0, v131, v0
	;; [unrolled: 1-line block ×3, first 2 shown]
	v_fmamk_f32 v103, v11, 0xbf737871, v78
	v_fmac_f32_e32 v78, 0x3f737871, v11
	v_fmac_f32_e32 v73, 0xbf167918, v125
	;; [unrolled: 1-line block ×3, first 2 shown]
	v_add_f32_e32 v9, v9, v108
	v_add_f32_e32 v101, v129, v130
	v_fmamk_f32 v108, v104, 0xbf737871, v74
	v_fmac_f32_e32 v74, 0x3f737871, v104
	v_fmac_f32_e32 v106, 0xbf167918, v11
	v_fmac_f32_e32 v13, 0x3f167918, v11
	v_fmac_f32_e32 v107, 0x3f167918, v104
	v_fmac_f32_e32 v75, 0xbf167918, v104
	v_fmac_f32_e32 v76, 0x3f167918, v125
	v_fmac_f32_e32 v109, 0xbf167918, v111
	v_fmac_f32_e32 v66, 0x3f167918, v111
	v_fmac_f32_e32 v112, 0x3e9e377a, v4
	v_fmac_f32_e32 v8, 0x3e9e377a, v4
	v_fmac_f32_e32 v102, 0x3e9e377a, v105
	v_add_f32_e32 v0, v0, v2
	v_fmac_f32_e32 v103, 0xbf167918, v12
	v_fmac_f32_e32 v78, 0x3f167918, v12
	;; [unrolled: 1-line block ×3, first 2 shown]
	v_mul_f32_e32 v12, 0xbf167918, v110
	v_mul_f32_e32 v77, 0x3f4f1bbd, v110
	v_fmac_f32_e32 v108, 0x3f167918, v67
	v_fmac_f32_e32 v74, 0xbf167918, v67
	;; [unrolled: 1-line block ×9, first 2 shown]
	v_mul_f32_e32 v14, 0xbf737871, v112
	v_mul_f32_e32 v15, 0xbf737871, v8
	;; [unrolled: 1-line block ×6, first 2 shown]
	v_add_f32_e32 v2, v7, v115
	v_add_f32_e32 v3, v1, v3
	;; [unrolled: 1-line block ×4, first 2 shown]
	v_fmac_f32_e32 v103, 0x3e9e377a, v10
	v_fmac_f32_e32 v12, 0x3f4f1bbd, v73
	;; [unrolled: 1-line block ×12, first 2 shown]
	v_add_f32_e32 v0, v2, v5
	v_add_f32_e32 v1, v3, v6
	v_sub_f32_e32 v2, v2, v5
	v_add_f32_e32 v4, v103, v12
	v_add_f32_e32 v5, v107, v77
	v_sub_f32_e32 v3, v3, v6
	v_add_f32_e32 v6, v106, v14
	v_add_f32_e32 v8, v13, v15
	;; [unrolled: 1-line block ×6, first 2 shown]
	v_sub_f32_e32 v12, v103, v12
	v_sub_f32_e32 v14, v106, v14
	v_sub_f32_e32 v73, v13, v15
	v_sub_f32_e32 v13, v107, v77
	v_sub_f32_e32 v15, v108, v79
	v_sub_f32_e32 v66, v78, v67
	v_sub_f32_e32 v74, v74, v101
	v_sub_f32_e32 v67, v75, v102
	ds_write2_b64 v117, v[0:1], v[4:5] offset1:5
	ds_write2_b64 v117, v[6:7], v[8:9] offset0:10 offset1:15
	ds_write2_b64 v117, v[10:11], v[2:3] offset0:20 offset1:25
	;; [unrolled: 1-line block ×4, first 2 shown]
	s_waitcnt lgkmcnt(0)
	s_barrier
	buffer_gl0_inv
	ds_read2_b64 v[4:7], v114 offset1:135
	ds_read2_b64 v[0:3], v69 offset0:14 offset1:194
	ds_read2_b64 v[12:15], v72 offset0:4 offset1:139
	;; [unrolled: 1-line block ×3, first 2 shown]
	ds_read_b64 v[68:69], v114 offset:9360
	s_and_saveexec_b32 s0, vcc_lo
	s_cbranch_execz .LBB0_15
; %bb.14:
	ds_read_b64 v[66:67], v114 offset:3240
	ds_read_b64 v[70:71], v114 offset:6840
	;; [unrolled: 1-line block ×3, first 2 shown]
.LBB0_15:
	s_or_b32 exec_lo, exec_lo, s0
	s_waitcnt lgkmcnt(3)
	v_mul_f32_e32 v72, v29, v3
	v_mul_f32_e32 v29, v29, v2
	s_waitcnt lgkmcnt(2)
	v_mul_f32_e32 v73, v31, v13
	v_mul_f32_e32 v31, v31, v12
	s_waitcnt lgkmcnt(0)
	v_fmac_f32_e32 v72, v28, v2
	v_fma_f32 v3, v28, v3, -v29
	v_mul_f32_e32 v28, v25, v9
	v_mul_f32_e32 v2, v25, v8
	v_fmac_f32_e32 v73, v30, v12
	v_fma_f32 v12, v30, v13, -v31
	v_mul_f32_e32 v13, v27, v15
	v_fmac_f32_e32 v28, v24, v8
	v_mul_f32_e32 v8, v27, v14
	v_fma_f32 v24, v24, v9, -v2
	v_mul_f32_e32 v25, v21, v11
	v_mul_f32_e32 v2, v21, v10
	v_fmac_f32_e32 v13, v26, v14
	v_fma_f32 v14, v26, v15, -v8
	v_mul_f32_e32 v15, v23, v69
	v_fmac_f32_e32 v25, v20, v10
	v_mul_f32_e32 v8, v23, v68
	v_fma_f32 v20, v20, v11, -v2
	v_mul_f32_e32 v23, v17, v71
	v_mul_f32_e32 v2, v17, v70
	v_fmac_f32_e32 v15, v22, v68
	v_fma_f32 v17, v22, v69, -v8
	v_mul_f32_e32 v8, v19, v64
	v_fmac_f32_e32 v23, v16, v70
	v_fma_f32 v16, v16, v71, -v2
	v_add_f32_e32 v2, v72, v73
	v_mul_f32_e32 v22, v19, v65
	v_add_f32_e32 v9, v4, v72
	v_fma_f32 v19, v18, v65, -v8
	v_add_f32_e32 v8, v3, v12
	v_fma_f32 v2, -0.5, v2, v4
	v_sub_f32_e32 v10, v3, v12
	v_add_f32_e32 v4, v9, v73
	v_add_f32_e32 v9, v5, v3
	v_fma_f32 v3, -0.5, v8, v5
	v_sub_f32_e32 v11, v72, v73
	v_fmamk_f32 v8, v10, 0xbf5db3d7, v2
	v_fmac_f32_e32 v2, 0x3f5db3d7, v10
	v_add_f32_e32 v10, v28, v13
	v_fmac_f32_e32 v22, v18, v64
	v_add_f32_e32 v5, v9, v12
	v_fmamk_f32 v9, v11, 0x3f5db3d7, v3
	v_add_f32_e32 v12, v6, v28
	v_fmac_f32_e32 v3, 0xbf5db3d7, v11
	v_add_f32_e32 v11, v24, v14
	v_fma_f32 v6, -0.5, v10, v6
	v_sub_f32_e32 v18, v24, v14
	v_add_f32_e32 v21, v7, v24
	v_add_f32_e32 v10, v12, v13
	v_fmac_f32_e32 v7, -0.5, v11
	v_sub_f32_e32 v24, v28, v13
	v_fmamk_f32 v12, v18, 0xbf5db3d7, v6
	v_fmac_f32_e32 v6, 0x3f5db3d7, v18
	v_add_f32_e32 v11, v21, v14
	v_add_f32_e32 v14, v25, v15
	;; [unrolled: 1-line block ×4, first 2 shown]
	v_fmamk_f32 v13, v24, 0x3f5db3d7, v7
	v_fmac_f32_e32 v7, 0xbf5db3d7, v24
	v_fma_f32 v0, -0.5, v14, v0
	v_add_f32_e32 v14, v18, v15
	v_add_f32_e32 v18, v1, v20
	v_sub_f32_e32 v24, v20, v17
	v_fmac_f32_e32 v1, -0.5, v21
	v_sub_f32_e32 v25, v25, v15
	s_barrier
	v_add_f32_e32 v15, v18, v17
	v_add_f32_e32 v17, v23, v22
	;; [unrolled: 1-line block ×3, first 2 shown]
	v_fmamk_f32 v20, v24, 0xbf5db3d7, v0
	v_fmac_f32_e32 v0, 0x3f5db3d7, v24
	v_fmamk_f32 v21, v25, 0x3f5db3d7, v1
	v_fmac_f32_e32 v1, 0xbf5db3d7, v25
	v_add_f32_e32 v24, v66, v23
	v_fmac_f32_e32 v66, -0.5, v17
	v_sub_f32_e32 v17, v16, v19
	v_add_f32_e32 v25, v67, v16
	v_fmac_f32_e32 v67, -0.5, v18
	v_sub_f32_e32 v23, v23, v22
	v_add_f32_e32 v16, v24, v22
	v_fmamk_f32 v18, v17, 0xbf5db3d7, v66
	v_fmac_f32_e32 v66, 0x3f5db3d7, v17
	v_add_f32_e32 v17, v25, v19
	v_fmamk_f32 v19, v23, 0x3f5db3d7, v67
	v_fmac_f32_e32 v67, 0xbf5db3d7, v23
	buffer_gl0_inv
	ds_write2_b64 v122, v[4:5], v[8:9] offset1:50
	ds_write_b64 v122, v[2:3] offset:800
	ds_write2_b64 v121, v[10:11], v[12:13] offset1:50
	ds_write_b64 v121, v[6:7] offset:800
	;; [unrolled: 2-line block ×3, first 2 shown]
	s_and_saveexec_b32 s0, vcc_lo
	s_cbranch_execz .LBB0_17
; %bb.16:
	v_mov_b32_e32 v0, 3
	v_lshlrev_b32_sdwa v0, v0, v118 dst_sel:DWORD dst_unused:UNUSED_PAD src0_sel:DWORD src1_sel:WORD_0
	v_add_nc_u32_e32 v1, 0x2000, v0
	ds_write2_b64 v1, v[16:17], v[18:19] offset0:176 offset1:226
	ds_write_b64 v0, v[66:67] offset:10400
.LBB0_17:
	s_or_b32 exec_lo, exec_lo, s0
	v_add_nc_u32_e32 v0, 0x800, v114
	v_add_nc_u32_e32 v8, 0x1c00, v114
	;; [unrolled: 1-line block ×3, first 2 shown]
	s_waitcnt lgkmcnt(0)
	s_barrier
	buffer_gl0_inv
	ds_read2_b64 v[4:7], v114 offset1:135
	ds_read2_b64 v[0:3], v0 offset0:14 offset1:194
	ds_read2_b64 v[12:15], v8 offset0:4 offset1:139
	;; [unrolled: 1-line block ×3, first 2 shown]
	ds_read_b64 v[20:21], v114 offset:9360
	s_and_saveexec_b32 s0, vcc_lo
	s_cbranch_execz .LBB0_19
; %bb.18:
	ds_read_b64 v[16:17], v114 offset:3240
	ds_read_b64 v[18:19], v114 offset:6840
	;; [unrolled: 1-line block ×3, first 2 shown]
.LBB0_19:
	s_or_b32 exec_lo, exec_lo, s0
	s_waitcnt lgkmcnt(3)
	v_mul_f32_e32 v23, v33, v2
	v_mul_f32_e32 v22, v33, v3
	s_waitcnt lgkmcnt(2)
	v_mul_f32_e32 v24, v35, v13
	v_mul_f32_e32 v25, v35, v12
	s_waitcnt lgkmcnt(1)
	v_mul_f32_e32 v28, v41, v19
	v_fma_f32 v3, v32, v3, -v23
	v_mul_f32_e32 v23, v49, v9
	v_fmac_f32_e32 v22, v32, v2
	v_fmac_f32_e32 v24, v34, v12
	v_mul_f32_e32 v2, v49, v8
	v_fma_f32 v12, v34, v13, -v25
	v_mul_f32_e32 v13, v51, v15
	v_fmac_f32_e32 v23, v48, v8
	v_mul_f32_e32 v8, v51, v14
	v_fma_f32 v25, v48, v9, -v2
	v_mul_f32_e32 v2, v45, v10
	v_fmac_f32_e32 v13, v50, v14
	v_mul_f32_e32 v26, v45, v11
	v_fma_f32 v14, v50, v15, -v8
	s_waitcnt lgkmcnt(0)
	v_mul_f32_e32 v15, v47, v21
	v_mul_f32_e32 v8, v47, v20
	v_fma_f32 v27, v44, v11, -v2
	v_mul_f32_e32 v2, v41, v18
	v_fmac_f32_e32 v28, v40, v18
	v_fmac_f32_e32 v15, v46, v20
	v_fma_f32 v20, v46, v21, -v8
	v_mul_f32_e32 v8, v43, v66
	v_fma_f32 v18, v40, v19, -v2
	v_add_f32_e32 v2, v22, v24
	v_add_f32_e32 v9, v4, v22
	v_fmac_f32_e32 v26, v44, v10
	v_fma_f32 v19, v42, v67, -v8
	v_add_f32_e32 v8, v3, v12
	v_fma_f32 v2, -0.5, v2, v4
	v_sub_f32_e32 v10, v3, v12
	v_add_f32_e32 v4, v9, v24
	v_add_f32_e32 v9, v5, v3
	v_fma_f32 v3, -0.5, v8, v5
	v_sub_f32_e32 v11, v22, v24
	v_fmamk_f32 v8, v10, 0xbf5db3d7, v2
	v_fmac_f32_e32 v2, 0x3f5db3d7, v10
	v_add_f32_e32 v5, v9, v12
	v_add_f32_e32 v10, v23, v13
	v_fmamk_f32 v9, v11, 0x3f5db3d7, v3
	v_fmac_f32_e32 v3, 0xbf5db3d7, v11
	v_add_f32_e32 v11, v25, v14
	v_add_f32_e32 v24, v7, v25
	v_mul_f32_e32 v21, v43, v67
	v_add_f32_e32 v12, v6, v23
	v_fma_f32 v6, -0.5, v10, v6
	v_sub_f32_e32 v22, v25, v14
	v_fmac_f32_e32 v7, -0.5, v11
	v_sub_f32_e32 v23, v23, v13
	v_add_f32_e32 v11, v24, v14
	v_add_f32_e32 v14, v26, v15
	v_fmac_f32_e32 v21, v42, v66
	v_add_f32_e32 v10, v12, v13
	v_fmamk_f32 v12, v22, 0xbf5db3d7, v6
	v_fmac_f32_e32 v6, 0x3f5db3d7, v22
	v_fmamk_f32 v13, v23, 0x3f5db3d7, v7
	v_add_f32_e32 v22, v0, v26
	v_fmac_f32_e32 v7, 0xbf5db3d7, v23
	v_add_f32_e32 v23, v27, v20
	v_fma_f32 v0, -0.5, v14, v0
	v_sub_f32_e32 v24, v27, v20
	v_add_f32_e32 v25, v1, v27
	v_add_f32_e32 v14, v22, v15
	v_fmac_f32_e32 v1, -0.5, v23
	v_sub_f32_e32 v26, v26, v15
	v_fmamk_f32 v22, v24, 0xbf5db3d7, v0
	v_fmac_f32_e32 v0, 0x3f5db3d7, v24
	v_add_f32_e32 v15, v25, v20
	v_add_f32_e32 v20, v28, v21
	;; [unrolled: 1-line block ×3, first 2 shown]
	v_fmamk_f32 v23, v26, 0x3f5db3d7, v1
	v_fmac_f32_e32 v1, 0xbf5db3d7, v26
	v_add_f32_e32 v25, v16, v28
	v_fmac_f32_e32 v16, -0.5, v20
	v_sub_f32_e32 v26, v18, v19
	v_add_f32_e32 v27, v17, v18
	v_fmac_f32_e32 v17, -0.5, v24
	v_sub_f32_e32 v24, v28, v21
	v_add_f32_e32 v18, v25, v21
	v_fmamk_f32 v20, v26, 0xbf5db3d7, v16
	v_fmac_f32_e32 v16, 0x3f5db3d7, v26
	v_add_f32_e32 v19, v27, v19
	v_fmamk_f32 v21, v24, 0x3f5db3d7, v17
	v_fmac_f32_e32 v17, 0xbf5db3d7, v24
	s_barrier
	buffer_gl0_inv
	ds_write2_b64 v114, v[4:5], v[8:9] offset1:150
	ds_write_b64 v114, v[2:3] offset:2400
	ds_write2_b64 v124, v[10:11], v[12:13] offset1:150
	ds_write_b64 v124, v[6:7] offset:2400
	;; [unrolled: 2-line block ×3, first 2 shown]
	s_and_saveexec_b32 s0, vcc_lo
	s_cbranch_execz .LBB0_21
; %bb.20:
	v_mov_b32_e32 v0, 3
	v_lshlrev_b32_sdwa v0, v0, v119 dst_sel:DWORD dst_unused:UNUSED_PAD src0_sel:DWORD src1_sel:WORD_0
	v_add_nc_u32_e32 v1, 0x1c00, v0
	ds_write2_b64 v1, v[18:19], v[20:21] offset0:4 offset1:154
	ds_write_b64 v0, v[16:17] offset:9600
.LBB0_21:
	s_or_b32 exec_lo, exec_lo, s0
	v_add_nc_u32_e32 v4, 0x800, v114
	v_add_nc_u32_e32 v8, 0x1c00, v114
	;; [unrolled: 1-line block ×3, first 2 shown]
	s_waitcnt lgkmcnt(0)
	s_barrier
	buffer_gl0_inv
	ds_read2_b64 v[0:3], v114 offset1:135
	ds_read2_b64 v[4:7], v4 offset0:14 offset1:194
	ds_read2_b64 v[12:15], v8 offset0:4 offset1:139
	;; [unrolled: 1-line block ×3, first 2 shown]
	ds_read_b64 v[22:23], v114 offset:9360
	s_and_saveexec_b32 s0, vcc_lo
	s_cbranch_execz .LBB0_23
; %bb.22:
	ds_read_b64 v[18:19], v114 offset:3240
	ds_read_b64 v[20:21], v114 offset:6840
	;; [unrolled: 1-line block ×3, first 2 shown]
.LBB0_23:
	s_or_b32 exec_lo, exec_lo, s0
	s_waitcnt lgkmcnt(3)
	v_mul_f32_e32 v25, v53, v7
	v_mul_f32_e32 v26, v53, v6
	s_waitcnt lgkmcnt(2)
	v_mul_f32_e32 v27, v55, v13
	v_mul_f32_e32 v28, v55, v12
	s_waitcnt lgkmcnt(1)
	v_mul_f32_e32 v29, v61, v11
	v_fmac_f32_e32 v25, v52, v6
	v_mul_f32_e32 v6, v57, v8
	v_fma_f32 v7, v52, v7, -v26
	v_mul_f32_e32 v26, v57, v9
	v_fmac_f32_e32 v27, v54, v12
	v_fma_f32 v12, v54, v13, -v28
	v_fma_f32 v28, v56, v9, -v6
	v_mul_f32_e32 v6, v61, v10
	v_mul_f32_e32 v13, v59, v15
	v_fmac_f32_e32 v26, v56, v8
	v_mul_f32_e32 v8, v59, v14
	v_add_f32_e32 v9, v0, v25
	v_fma_f32 v30, v60, v11, -v6
	v_add_f32_e32 v6, v25, v27
	v_fmac_f32_e32 v13, v58, v14
	v_fma_f32 v14, v58, v15, -v8
	s_waitcnt lgkmcnt(0)
	v_mul_f32_e32 v15, v63, v23
	v_mul_f32_e32 v8, v63, v22
	v_fma_f32 v6, -0.5, v6, v0
	v_sub_f32_e32 v11, v7, v12
	v_fmac_f32_e32 v29, v60, v10
	v_fmac_f32_e32 v15, v62, v22
	v_fma_f32 v23, v62, v23, -v8
	v_add_f32_e32 v10, v7, v12
	v_add_f32_e32 v8, v9, v27
	;; [unrolled: 1-line block ×3, first 2 shown]
	v_fmamk_f32 v0, v11, 0xbf5db3d7, v6
	v_fmac_f32_e32 v6, 0x3f5db3d7, v11
	v_add_f32_e32 v11, v26, v13
	v_add_f32_e32 v22, v28, v14
	v_fma_f32 v7, -0.5, v10, v1
	v_sub_f32_e32 v10, v25, v27
	v_add_f32_e32 v9, v9, v12
	v_add_f32_e32 v12, v2, v26
	v_fma_f32 v2, -0.5, v11, v2
	v_sub_f32_e32 v11, v28, v14
	v_add_f32_e32 v25, v3, v28
	v_fmac_f32_e32 v3, -0.5, v22
	v_sub_f32_e32 v22, v26, v13
	v_fmamk_f32 v1, v10, 0x3f5db3d7, v7
	v_fmac_f32_e32 v7, 0xbf5db3d7, v10
	v_add_f32_e32 v10, v12, v13
	v_fmamk_f32 v12, v11, 0xbf5db3d7, v2
	v_fmac_f32_e32 v2, 0x3f5db3d7, v11
	v_add_f32_e32 v11, v25, v14
	v_add_f32_e32 v14, v29, v15
	v_fmamk_f32 v13, v22, 0x3f5db3d7, v3
	v_fmac_f32_e32 v3, 0xbf5db3d7, v22
	v_add_f32_e32 v22, v30, v23
	v_add_f32_e32 v25, v4, v29
	;; [unrolled: 1-line block ×3, first 2 shown]
	v_fma_f32 v4, -0.5, v14, v4
	v_sub_f32_e32 v26, v30, v23
	v_fmac_f32_e32 v5, -0.5, v22
	v_sub_f32_e32 v28, v29, v15
	ds_write_b64 v114, v[0:1] offset:3600
	v_add_nc_u32_e32 v0, 0x2000, v114
	v_add_f32_e32 v14, v25, v15
	v_add_f32_e32 v15, v27, v23
	v_fmamk_f32 v22, v26, 0xbf5db3d7, v4
	v_fmamk_f32 v23, v28, 0x3f5db3d7, v5
	v_fmac_f32_e32 v4, 0x3f5db3d7, v26
	v_fmac_f32_e32 v5, 0xbf5db3d7, v28
	ds_write_b64 v114, v[6:7] offset:7200
	ds_write2_b64 v114, v[8:9], v[10:11] offset1:135
	ds_write_b64 v114, v[14:15] offset:2160
	ds_write2_b64 v24, v[12:13], v[22:23] offset0:73 offset1:208
	ds_write2_b64 v0, v[2:3], v[4:5] offset0:11 offset1:146
	s_and_saveexec_b32 s0, vcc_lo
	s_cbranch_execz .LBB0_25
; %bb.24:
	v_mul_f32_e32 v1, v37, v20
	v_mul_f32_e32 v2, v39, v16
	;; [unrolled: 1-line block ×4, first 2 shown]
	v_fma_f32 v1, v36, v21, -v1
	v_fma_f32 v4, v38, v17, -v2
	v_fmac_f32_e32 v3, v36, v20
	v_fmac_f32_e32 v5, v38, v16
	v_add_f32_e32 v8, v19, v1
	v_add_f32_e32 v2, v1, v4
	v_sub_f32_e32 v9, v1, v4
	v_add_f32_e32 v6, v3, v5
	v_sub_f32_e32 v7, v3, v5
	v_add_f32_e32 v3, v18, v3
	v_fma_f32 v2, -0.5, v2, v19
	v_add_f32_e32 v4, v8, v4
	v_fma_f32 v1, -0.5, v6, v18
	v_add_f32_e32 v3, v3, v5
	v_fmamk_f32 v6, v7, 0xbf5db3d7, v2
	v_fmac_f32_e32 v2, 0x3f5db3d7, v7
	v_fmamk_f32 v5, v9, 0x3f5db3d7, v1
	v_fmac_f32_e32 v1, 0xbf5db3d7, v9
	ds_write_b64 v114, v[3:4] offset:3240
	ds_write_b64 v114, v[1:2] offset:6840
	ds_write_b64 v114, v[5:6] offset:10440
.LBB0_25:
	s_or_b32 exec_lo, exec_lo, s0
	v_add_nc_u32_e32 v5, 0x800, v114
	s_waitcnt lgkmcnt(0)
	s_barrier
	buffer_gl0_inv
	ds_read2_b64 v[1:4], v114 offset1:135
	ds_read2_b64 v[5:8], v5 offset0:14 offset1:149
	v_mad_u64_u32 v[21:22], null, s10, v80, 0
	v_add_nc_u32_e32 v13, 0x1000, v114
	v_add_nc_u32_e32 v17, 0x1800, v114
	ds_read2_b64 v[9:12], v0 offset0:56 offset1:191
	ds_read2_b64 v[13:16], v13 offset0:28 offset1:163
	;; [unrolled: 1-line block ×3, first 2 shown]
	v_mad_u64_u32 v[23:24], null, s8, v113, 0
	v_mov_b32_e32 v0, v22
	s_mov_b32 s0, 0xa0ce5129
	s_mov_b32 s1, 0x3f4845c8
	s_mul_i32 s2, s9, 0x870
	s_mul_hi_u32 s6, s8, 0x870
	s_mul_i32 s3, s8, 0x870
	s_add_i32 s2, s6, s2
	s_waitcnt lgkmcnt(4)
	v_mul_f32_e32 v25, v82, v2
	v_mul_f32_e32 v26, v82, v1
	s_waitcnt lgkmcnt(3)
	v_mul_f32_e32 v27, v100, v6
	v_mul_f32_e32 v28, v100, v5
	;; [unrolled: 1-line block ×3, first 2 shown]
	v_fmac_f32_e32 v25, v81, v1
	v_fma_f32 v2, v81, v2, -v26
	v_fmac_f32_e32 v27, v99, v5
	v_fma_f32 v22, v99, v6, -v28
	v_mov_b32_e32 v1, v24
	v_cvt_f64_f32_e32 v[5:6], v25
	v_cvt_f64_f32_e32 v[25:26], v2
	;; [unrolled: 1-line block ×4, first 2 shown]
	v_mad_u64_u32 v[31:32], null, s11, v80, v[0:1]
	v_mad_u64_u32 v[0:1], null, s9, v113, v[1:2]
	s_waitcnt lgkmcnt(2)
	v_mul_f32_e32 v1, v98, v9
	v_mul_f32_e32 v32, v98, v10
	;; [unrolled: 1-line block ×3, first 2 shown]
	v_fmac_f32_e32 v33, v93, v3
	v_mov_b32_e32 v22, v31
	v_fma_f32 v38, v97, v10, -v1
	v_mov_b32_e32 v24, v0
	v_fmac_f32_e32 v32, v97, v9
	s_waitcnt lgkmcnt(1)
	v_mul_f32_e32 v31, v86, v14
	v_mul_f32_e32 v35, v86, v13
	v_fma_f32 v4, v93, v4, -v34
	v_mul_f32_e32 v34, v96, v8
	v_lshlrev_b64 v[21:22], 3, v[21:22]
	v_fmac_f32_e32 v31, v85, v13
	v_mul_f64 v[0:1], v[5:6], s[0:1]
	v_mul_f64 v[2:3], v[25:26], s[0:1]
	;; [unrolled: 1-line block ×4, first 2 shown]
	v_mul_f32_e32 v29, v96, v7
	v_fma_f32 v30, v85, v14, -v35
	v_cvt_f64_f32_e32 v[13:14], v32
	v_fmac_f32_e32 v34, v95, v7
	v_lshlrev_b64 v[23:24], 3, v[23:24]
	v_fma_f32 v32, v95, v8, -v29
	v_cvt_f64_f32_e32 v[7:8], v31
	s_waitcnt lgkmcnt(0)
	v_mul_f32_e32 v36, v90, v18
	v_mul_f32_e32 v37, v90, v17
	v_cvt_f64_f32_e32 v[25:26], v33
	v_cvt_f64_f32_e32 v[29:30], v30
	v_mul_f32_e32 v39, v84, v16
	v_fmac_f32_e32 v36, v89, v17
	v_fma_f32 v35, v89, v18, -v37
	v_cvt_f64_f32_e32 v[27:28], v4
	v_cvt_f64_f32_e32 v[17:18], v38
	v_fmac_f32_e32 v39, v83, v15
	v_cvt_f32_f64_e32 v0, v[0:1]
	v_cvt_f32_f64_e32 v1, v[2:3]
	;; [unrolled: 1-line block ×4, first 2 shown]
	v_add_co_u32 v6, vcc_lo, s4, v21
	v_add_co_ci_u32_e32 v31, vcc_lo, s5, v22, vcc_lo
	v_cvt_f64_f32_e32 v[21:22], v34
	v_add_co_u32 v23, vcc_lo, v6, v23
	v_add_co_ci_u32_e32 v24, vcc_lo, v31, v24, vcc_lo
	v_cvt_f64_f32_e32 v[4:5], v36
	;; [unrolled: 3-line block ×3, first 2 shown]
	v_mul_f64 v[6:7], v[7:8], s[0:1]
	v_mul_f32_e32 v8, v92, v12
	v_cvt_f64_f32_e32 v[31:32], v32
	global_store_dwordx2 v[23:24], v[0:1], off
	global_store_dwordx2 v[33:34], v[2:3], off
	v_mul_f32_e32 v0, v84, v15
	v_mul_f32_e32 v2, v88, v20
	v_mul_f32_e32 v1, v88, v19
	v_mul_f32_e32 v3, v92, v11
	v_fmac_f32_e32 v8, v91, v11
	v_fma_f32 v0, v83, v16, -v0
	v_fmac_f32_e32 v2, v87, v19
	v_fma_f32 v15, v87, v20, -v1
	v_fma_f32 v19, v91, v12, -v3
	v_cvt_f64_f32_e32 v[35:36], v39
	v_cvt_f64_f32_e32 v[0:1], v0
	;; [unrolled: 1-line block ×6, first 2 shown]
	v_mul_f64 v[29:30], v[29:30], s[0:1]
	v_mul_f64 v[4:5], v[4:5], s[0:1]
	;; [unrolled: 1-line block ×5, first 2 shown]
	v_add_co_u32 v23, vcc_lo, v33, s3
	v_add_co_ci_u32_e32 v24, vcc_lo, s2, v34, vcc_lo
	v_mul_f64 v[25:26], v[25:26], s[0:1]
	v_mul_f64 v[27:28], v[27:28], s[0:1]
	;; [unrolled: 1-line block ×4, first 2 shown]
	v_add_co_u32 v33, vcc_lo, v23, s3
	v_add_co_ci_u32_e32 v34, vcc_lo, s2, v24, vcc_lo
	v_mul_f64 v[35:36], v[35:36], s[0:1]
	v_mul_f64 v[0:1], v[0:1], s[0:1]
	;; [unrolled: 1-line block ×6, first 2 shown]
	v_add_co_u32 v37, vcc_lo, v33, s3
	v_cvt_f32_f64_e32 v6, v[6:7]
	v_cvt_f32_f64_e32 v7, v[29:30]
	v_add_co_ci_u32_e32 v38, vcc_lo, s2, v34, vcc_lo
	v_cvt_f32_f64_e32 v4, v[4:5]
	v_cvt_f32_f64_e32 v5, v[8:9]
	v_cvt_f32_f64_e32 v8, v[13:14]
	v_mad_u64_u32 v[29:30], null, 0xffffe278, s8, v[37:38]
	v_cvt_f32_f64_e32 v9, v[17:18]
	s_mul_i32 s0, s9, 0xffffe278
	v_cvt_f32_f64_e32 v12, v[25:26]
	s_sub_i32 s0, s0, s8
	v_cvt_f32_f64_e32 v13, v[27:28]
	v_cvt_f32_f64_e32 v17, v[21:22]
	v_add_nc_u32_e32 v30, s0, v30
	v_cvt_f32_f64_e32 v18, v[31:32]
	v_cvt_f32_f64_e32 v21, v[35:36]
	;; [unrolled: 1-line block ×7, first 2 shown]
	v_add_co_u32 v10, vcc_lo, v29, s3
	v_add_co_ci_u32_e32 v11, vcc_lo, s2, v30, vcc_lo
	global_store_dwordx2 v[23:24], v[6:7], off
	v_add_co_u32 v6, vcc_lo, v10, s3
	v_add_co_ci_u32_e32 v7, vcc_lo, s2, v11, vcc_lo
	global_store_dwordx2 v[33:34], v[4:5], off
	;; [unrolled: 3-line block ×4, first 2 shown]
	global_store_dwordx2 v[10:11], v[17:18], off
	global_store_dwordx2 v[6:7], v[21:22], off
	;; [unrolled: 1-line block ×4, first 2 shown]
.LBB0_26:
	s_endpgm
	.section	.rodata,"a",@progbits
	.p2align	6, 0x0
	.amdhsa_kernel bluestein_single_back_len1350_dim1_sp_op_CI_CI
		.amdhsa_group_segment_fixed_size 10800
		.amdhsa_private_segment_fixed_size 0
		.amdhsa_kernarg_size 104
		.amdhsa_user_sgpr_count 6
		.amdhsa_user_sgpr_private_segment_buffer 1
		.amdhsa_user_sgpr_dispatch_ptr 0
		.amdhsa_user_sgpr_queue_ptr 0
		.amdhsa_user_sgpr_kernarg_segment_ptr 1
		.amdhsa_user_sgpr_dispatch_id 0
		.amdhsa_user_sgpr_flat_scratch_init 0
		.amdhsa_user_sgpr_private_segment_size 0
		.amdhsa_wavefront_size32 1
		.amdhsa_uses_dynamic_stack 0
		.amdhsa_system_sgpr_private_segment_wavefront_offset 0
		.amdhsa_system_sgpr_workgroup_id_x 1
		.amdhsa_system_sgpr_workgroup_id_y 0
		.amdhsa_system_sgpr_workgroup_id_z 0
		.amdhsa_system_sgpr_workgroup_info 0
		.amdhsa_system_vgpr_workitem_id 0
		.amdhsa_next_free_vgpr 161
		.amdhsa_next_free_sgpr 20
		.amdhsa_reserve_vcc 1
		.amdhsa_reserve_flat_scratch 0
		.amdhsa_float_round_mode_32 0
		.amdhsa_float_round_mode_16_64 0
		.amdhsa_float_denorm_mode_32 3
		.amdhsa_float_denorm_mode_16_64 3
		.amdhsa_dx10_clamp 1
		.amdhsa_ieee_mode 1
		.amdhsa_fp16_overflow 0
		.amdhsa_workgroup_processor_mode 1
		.amdhsa_memory_ordered 1
		.amdhsa_forward_progress 0
		.amdhsa_shared_vgpr_count 0
		.amdhsa_exception_fp_ieee_invalid_op 0
		.amdhsa_exception_fp_denorm_src 0
		.amdhsa_exception_fp_ieee_div_zero 0
		.amdhsa_exception_fp_ieee_overflow 0
		.amdhsa_exception_fp_ieee_underflow 0
		.amdhsa_exception_fp_ieee_inexact 0
		.amdhsa_exception_int_div_zero 0
	.end_amdhsa_kernel
	.text
.Lfunc_end0:
	.size	bluestein_single_back_len1350_dim1_sp_op_CI_CI, .Lfunc_end0-bluestein_single_back_len1350_dim1_sp_op_CI_CI
                                        ; -- End function
	.section	.AMDGPU.csdata,"",@progbits
; Kernel info:
; codeLenInByte = 11732
; NumSgprs: 22
; NumVgprs: 161
; ScratchSize: 0
; MemoryBound: 0
; FloatMode: 240
; IeeeMode: 1
; LDSByteSize: 10800 bytes/workgroup (compile time only)
; SGPRBlocks: 2
; VGPRBlocks: 20
; NumSGPRsForWavesPerEU: 22
; NumVGPRsForWavesPerEU: 161
; Occupancy: 5
; WaveLimiterHint : 1
; COMPUTE_PGM_RSRC2:SCRATCH_EN: 0
; COMPUTE_PGM_RSRC2:USER_SGPR: 6
; COMPUTE_PGM_RSRC2:TRAP_HANDLER: 0
; COMPUTE_PGM_RSRC2:TGID_X_EN: 1
; COMPUTE_PGM_RSRC2:TGID_Y_EN: 0
; COMPUTE_PGM_RSRC2:TGID_Z_EN: 0
; COMPUTE_PGM_RSRC2:TIDIG_COMP_CNT: 0
	.text
	.p2alignl 6, 3214868480
	.fill 48, 4, 3214868480
	.type	__hip_cuid_3f66e57ad5a909b7,@object ; @__hip_cuid_3f66e57ad5a909b7
	.section	.bss,"aw",@nobits
	.globl	__hip_cuid_3f66e57ad5a909b7
__hip_cuid_3f66e57ad5a909b7:
	.byte	0                               ; 0x0
	.size	__hip_cuid_3f66e57ad5a909b7, 1

	.ident	"AMD clang version 19.0.0git (https://github.com/RadeonOpenCompute/llvm-project roc-6.4.0 25133 c7fe45cf4b819c5991fe208aaa96edf142730f1d)"
	.section	".note.GNU-stack","",@progbits
	.addrsig
	.addrsig_sym __hip_cuid_3f66e57ad5a909b7
	.amdgpu_metadata
---
amdhsa.kernels:
  - .args:
      - .actual_access:  read_only
        .address_space:  global
        .offset:         0
        .size:           8
        .value_kind:     global_buffer
      - .actual_access:  read_only
        .address_space:  global
        .offset:         8
        .size:           8
        .value_kind:     global_buffer
      - .actual_access:  read_only
        .address_space:  global
        .offset:         16
        .size:           8
        .value_kind:     global_buffer
      - .actual_access:  read_only
        .address_space:  global
        .offset:         24
        .size:           8
        .value_kind:     global_buffer
      - .actual_access:  read_only
        .address_space:  global
        .offset:         32
        .size:           8
        .value_kind:     global_buffer
      - .offset:         40
        .size:           8
        .value_kind:     by_value
      - .address_space:  global
        .offset:         48
        .size:           8
        .value_kind:     global_buffer
      - .address_space:  global
        .offset:         56
        .size:           8
        .value_kind:     global_buffer
      - .address_space:  global
        .offset:         64
        .size:           8
        .value_kind:     global_buffer
      - .address_space:  global
        .offset:         72
        .size:           8
        .value_kind:     global_buffer
      - .offset:         80
        .size:           4
        .value_kind:     by_value
      - .address_space:  global
        .offset:         88
        .size:           8
        .value_kind:     global_buffer
      - .address_space:  global
        .offset:         96
        .size:           8
        .value_kind:     global_buffer
    .group_segment_fixed_size: 10800
    .kernarg_segment_align: 8
    .kernarg_segment_size: 104
    .language:       OpenCL C
    .language_version:
      - 2
      - 0
    .max_flat_workgroup_size: 135
    .name:           bluestein_single_back_len1350_dim1_sp_op_CI_CI
    .private_segment_fixed_size: 0
    .sgpr_count:     22
    .sgpr_spill_count: 0
    .symbol:         bluestein_single_back_len1350_dim1_sp_op_CI_CI.kd
    .uniform_work_group_size: 1
    .uses_dynamic_stack: false
    .vgpr_count:     161
    .vgpr_spill_count: 0
    .wavefront_size: 32
    .workgroup_processor_mode: 1
amdhsa.target:   amdgcn-amd-amdhsa--gfx1030
amdhsa.version:
  - 1
  - 2
...

	.end_amdgpu_metadata
